;; amdgpu-corpus repo=ROCm/rocFFT kind=compiled arch=gfx950 opt=O3
	.text
	.amdgcn_target "amdgcn-amd-amdhsa--gfx950"
	.amdhsa_code_object_version 6
	.protected	bluestein_single_back_len1485_dim1_dp_op_CI_CI ; -- Begin function bluestein_single_back_len1485_dim1_dp_op_CI_CI
	.globl	bluestein_single_back_len1485_dim1_dp_op_CI_CI
	.p2align	8
	.type	bluestein_single_back_len1485_dim1_dp_op_CI_CI,@function
bluestein_single_back_len1485_dim1_dp_op_CI_CI: ; @bluestein_single_back_len1485_dim1_dp_op_CI_CI
; %bb.0:
	s_load_dwordx4 s[4:7], s[0:1], 0x28
	v_mul_u32_u24_e32 v1, 0x18e, v0
	v_mov_b32_e32 v195, 0
	v_add_u32_sdwa v34, s2, v1 dst_sel:DWORD dst_unused:UNUSED_PAD src0_sel:DWORD src1_sel:WORD_1
	v_mov_b32_e32 v35, v195
	s_waitcnt lgkmcnt(0)
	v_cmp_gt_u64_e32 vcc, s[4:5], v[34:35]
	s_and_saveexec_b64 s[2:3], vcc
	s_cbranch_execz .LBB0_18
; %bb.1:
	s_load_dwordx4 s[12:15], s[0:1], 0x18
	s_load_dwordx4 s[8:11], s[0:1], 0x0
	v_mov_b32_e32 v2, s6
	v_mov_b32_e32 v3, s7
	s_movk_i32 s2, 0xa5
	s_waitcnt lgkmcnt(0)
	s_load_dwordx4 s[4:7], s[12:13], 0x0
	v_mul_lo_u16_sdwa v1, v1, s2 dst_sel:DWORD dst_unused:UNUSED_PAD src0_sel:WORD_1 src1_sel:DWORD
	v_sub_u16_e32 v194, v0, v1
	v_mov_b32_e32 v8, 0x1ef0
	v_lshlrev_b32_e32 v192, 4, v194
	s_waitcnt lgkmcnt(0)
	v_mad_u64_u32 v[0:1], s[2:3], s6, v34, 0
	v_mov_b32_e32 v4, v1
	v_mad_u64_u32 v[4:5], s[2:3], s7, v34, v[4:5]
	v_mov_b32_e32 v1, v4
	v_mad_u64_u32 v[4:5], s[2:3], s4, v194, 0
	v_mov_b32_e32 v6, v5
	v_mad_u64_u32 v[6:7], s[2:3], s5, v194, v[6:7]
	v_mov_b32_e32 v5, v6
	v_lshl_add_u64 v[0:1], v[0:1], 4, v[2:3]
	v_lshl_add_u64 v[0:1], v[4:5], 4, v[0:1]
	global_load_dwordx4 v[36:39], v[0:1], off
	v_mov_b32_e32 v193, v195
	v_mad_u64_u32 v[0:1], s[2:3], s4, v8, v[0:1]
	v_lshl_add_u64 v[28:29], s[8:9], 0, v[192:193]
	s_mul_i32 s2, s5, 0x1ef0
	s_movk_i32 s3, 0x1000
	v_add_u32_e32 v1, s2, v1
	v_add_co_u32_e32 v2, vcc, s3, v28
	v_mad_u64_u32 v[4:5], s[6:7], s4, v8, v[0:1]
	s_nop 0
	v_addc_co_u32_e32 v3, vcc, 0, v29, vcc
	s_movk_i32 s3, 0x3000
	global_load_dwordx4 v[10:13], v[2:3], off offset:3824
	v_add_u32_e32 v5, s2, v5
	global_load_dwordx4 v[40:43], v[0:1], off
	global_load_dwordx4 v[44:47], v[4:5], off
	v_add_co_u32_e32 v0, vcc, s3, v28
	v_mov_b32_e32 v9, 0xffffcc70
	s_mul_i32 s3, s5, 0xffffcc70
	global_load_dwordx4 v[80:83], v192, s[8:9]
	global_load_dwordx4 v[22:25], v192, s[8:9] offset:2640
	v_mad_u64_u32 v[4:5], s[6:7], s4, v9, v[4:5]
	s_sub_i32 s3, s3, s4
	v_add_u32_e32 v5, s3, v5
	v_addc_co_u32_e32 v1, vcc, 0, v29, vcc
	v_mad_u64_u32 v[6:7], s[6:7], s4, v8, v[4:5]
	s_movk_i32 s5, 0x2000
	global_load_dwordx4 v[14:17], v[0:1], off offset:3552
	v_add_u32_e32 v7, s2, v7
	global_load_dwordx4 v[48:51], v[4:5], off
	global_load_dwordx4 v[52:55], v[6:7], off
	v_add_co_u32_e32 v4, vcc, s5, v28
	s_movk_i32 s5, 0x4000
	s_nop 0
	v_addc_co_u32_e32 v5, vcc, 0, v29, vcc
	global_load_dwordx4 v[18:21], v[4:5], off offset:2368
	v_mad_u64_u32 v[4:5], s[6:7], s4, v8, v[6:7]
	v_add_u32_e32 v5, s2, v5
	global_load_dwordx4 v[56:59], v[4:5], off
	v_add_co_u32_e32 v6, vcc, s5, v28
	v_mad_u64_u32 v[4:5], s[6:7], s4, v9, v[4:5]
	s_nop 0
	v_addc_co_u32_e32 v7, vcc, 0, v29, vcc
	v_add_u32_e32 v5, s3, v5
	global_load_dwordx4 v[30:33], v[6:7], off offset:2096
	global_load_dwordx4 v[60:63], v[4:5], off
	global_load_dwordx4 v[76:79], v[2:3], off offset:1184
	v_mad_u64_u32 v[2:3], s[6:7], s4, v8, v[4:5]
	v_add_u32_e32 v3, s2, v3
	global_load_dwordx4 v[64:67], v[2:3], off
	global_load_dwordx4 v[4:7], v[0:1], off offset:912
	v_mad_u64_u32 v[0:1], s[4:5], s4, v8, v[2:3]
	v_add_u32_e32 v1, s2, v1
	s_movk_i32 s2, 0x5000
	global_load_dwordx4 v[68:71], v[0:1], off
	v_add_co_u32_e32 v0, vcc, s2, v28
	s_mov_b32 s3, 0xbfebb67a
	s_nop 0
	v_addc_co_u32_e32 v1, vcc, 0, v29, vcc
	global_load_dwordx4 v[26:29], v[0:1], off offset:640
	s_load_dwordx2 s[12:13], s[0:1], 0x38
	s_load_dwordx4 s[4:7], s[14:15], 0x0
	s_mov_b64 s[0:1], 0xa5
	v_lshl_add_u64 v[158:159], v[194:195], 0, s[0:1]
	s_mov_b64 s[0:1], 0x14a
	v_lshl_add_u64 v[156:157], v[194:195], 0, s[0:1]
	s_mov_b32 s0, 0xe8584caa
	s_mov_b32 s1, 0x3febb67a
	;; [unrolled: 1-line block ×3, first 2 shown]
                                        ; implicit-def: $vgpr96_vgpr97
	s_waitcnt vmcnt(16)
	v_accvgpr_write_b32 a0, v10
	v_accvgpr_write_b32 a1, v11
	;; [unrolled: 1-line block ×4, first 2 shown]
	s_waitcnt vmcnt(13)
	v_mul_f64 v[72:73], v[38:39], v[82:83]
	v_mul_f64 v[0:1], v[36:37], v[82:83]
	v_fmac_f64_e32 v[72:73], v[36:37], v[80:81]
	v_fma_f64 v[74:75], v[38:39], v[80:81], -v[0:1]
	v_mul_f64 v[36:37], v[42:43], v[12:13]
	v_mul_f64 v[0:1], v[40:41], v[12:13]
	v_fmac_f64_e32 v[36:37], v[40:41], v[10:11]
	v_fma_f64 v[38:39], v[42:43], v[10:11], -v[0:1]
	ds_write_b128 v192, v[36:39] offset:7920
	ds_write_b128 v192, v[72:75]
	v_accvgpr_write_b32 a32, v80
	s_waitcnt vmcnt(11)
	v_mul_f64 v[36:37], v[46:47], v[16:17]
	v_mul_f64 v[0:1], v[44:45], v[16:17]
	v_fmac_f64_e32 v[36:37], v[44:45], v[14:15]
	v_fma_f64 v[38:39], v[46:47], v[14:15], -v[0:1]
	ds_write_b128 v192, v[36:39] offset:15840
	s_waitcnt vmcnt(10)
	v_mul_f64 v[36:37], v[50:51], v[24:25]
	v_mul_f64 v[0:1], v[48:49], v[24:25]
	v_fmac_f64_e32 v[36:37], v[48:49], v[22:23]
	v_fma_f64 v[38:39], v[50:51], v[22:23], -v[0:1]
	ds_write_b128 v192, v[36:39] offset:2640
	;; [unrolled: 6-line block ×3, first 2 shown]
	v_accvgpr_write_b32 a33, v81
	v_accvgpr_write_b32 a34, v82
	;; [unrolled: 1-line block ×5, first 2 shown]
	s_waitcnt vmcnt(6)
	v_mul_f64 v[36:37], v[58:59], v[32:33]
	v_mul_f64 v[0:1], v[56:57], v[32:33]
	v_fmac_f64_e32 v[36:37], v[56:57], v[30:31]
	v_fma_f64 v[38:39], v[58:59], v[30:31], -v[0:1]
	ds_write_b128 v192, v[36:39] offset:18480
	s_waitcnt vmcnt(4)
	v_mul_f64 v[36:37], v[62:63], v[78:79]
	v_mul_f64 v[0:1], v[60:61], v[78:79]
	v_fmac_f64_e32 v[36:37], v[60:61], v[76:77]
	v_fma_f64 v[38:39], v[62:63], v[76:77], -v[0:1]
	ds_write_b128 v192, v[36:39] offset:5280
	;; [unrolled: 6-line block ×3, first 2 shown]
	v_accvgpr_write_b32 a20, v76
	s_waitcnt vmcnt(0)
	v_mul_f64 v[36:37], v[70:71], v[28:29]
	v_mul_f64 v[0:1], v[68:69], v[28:29]
	v_fmac_f64_e32 v[36:37], v[68:69], v[26:27]
	v_fma_f64 v[38:39], v[70:71], v[26:27], -v[0:1]
	ds_write_b128 v192, v[36:39] offset:21120
	s_waitcnt lgkmcnt(0)
	s_barrier
	ds_read_b128 v[36:39], v192
	ds_read_b128 v[108:111], v192 offset:2640
	ds_read_b128 v[40:43], v192 offset:15840
	;; [unrolled: 1-line block ×8, first 2 shown]
	s_waitcnt lgkmcnt(4)
	v_add_f64 v[0:1], v[36:37], v[48:49]
	v_add_f64 v[64:65], v[0:1], v[40:41]
	v_add_f64 v[0:1], v[48:49], v[40:41]
	v_fmac_f64_e32 v[36:37], -0.5, v[0:1]
	v_add_f64 v[0:1], v[50:51], -v[42:43]
	v_fma_f64 v[80:81], s[0:1], v[0:1], v[36:37]
	v_fmac_f64_e32 v[36:37], s[2:3], v[0:1]
	v_add_f64 v[0:1], v[38:39], v[50:51]
	v_add_f64 v[66:67], v[0:1], v[42:43]
	;; [unrolled: 1-line block ×3, first 2 shown]
	v_fmac_f64_e32 v[38:39], -0.5, v[0:1]
	v_add_f64 v[0:1], v[48:49], -v[40:41]
	v_fma_f64 v[82:83], s[2:3], v[0:1], v[38:39]
	v_fmac_f64_e32 v[38:39], s[0:1], v[0:1]
	s_waitcnt lgkmcnt(2)
	v_add_f64 v[0:1], v[108:109], v[52:53]
	v_add_f64 v[40:41], v[0:1], v[44:45]
	;; [unrolled: 1-line block ×3, first 2 shown]
	v_fmac_f64_e32 v[108:109], -0.5, v[0:1]
	v_add_f64 v[0:1], v[54:55], -v[46:47]
	v_fma_f64 v[48:49], s[0:1], v[0:1], v[108:109]
	v_fmac_f64_e32 v[108:109], s[2:3], v[0:1]
	v_add_f64 v[0:1], v[110:111], v[54:55]
	v_add_f64 v[42:43], v[0:1], v[46:47]
	;; [unrolled: 1-line block ×3, first 2 shown]
	v_fmac_f64_e32 v[110:111], -0.5, v[0:1]
	v_add_f64 v[0:1], v[52:53], -v[44:45]
	v_fma_f64 v[50:51], s[2:3], v[0:1], v[110:111]
	v_fmac_f64_e32 v[110:111], s[0:1], v[0:1]
	s_waitcnt lgkmcnt(1)
	v_add_f64 v[0:1], v[68:69], v[56:57]
	s_waitcnt lgkmcnt(0)
	v_add_f64 v[72:73], v[0:1], v[60:61]
	v_add_f64 v[0:1], v[56:57], v[60:61]
	v_fmac_f64_e32 v[68:69], -0.5, v[0:1]
	v_add_f64 v[0:1], v[58:59], -v[62:63]
	v_accvgpr_write_b32 a21, v77
	v_accvgpr_write_b32 a22, v78
	;; [unrolled: 1-line block ×3, first 2 shown]
	v_fma_f64 v[76:77], s[0:1], v[0:1], v[68:69]
	v_fmac_f64_e32 v[68:69], s[2:3], v[0:1]
	v_add_f64 v[0:1], v[70:71], v[58:59]
	v_add_f64 v[74:75], v[0:1], v[62:63]
	;; [unrolled: 1-line block ×3, first 2 shown]
	v_fmac_f64_e32 v[70:71], -0.5, v[0:1]
	v_add_f64 v[0:1], v[56:57], -v[60:61]
	v_fma_f64 v[78:79], s[2:3], v[0:1], v[70:71]
	v_fmac_f64_e32 v[70:71], s[0:1], v[0:1]
	v_mul_lo_u16_e32 v0, 3, v194
	v_lshlrev_b32_e32 v197, 4, v0
	v_mul_u32_u24_e32 v0, 3, v158
	v_lshlrev_b32_e32 v0, 4, v0
	s_barrier
	ds_write_b128 v197, v[64:67]
	ds_write_b128 v197, v[80:83] offset:16
	ds_write_b128 v197, v[36:39] offset:32
	ds_write_b128 v0, v[40:43]
	ds_write_b128 v0, v[48:51] offset:16
	v_accvgpr_write_b32 a38, v0
	ds_write_b128 v0, v[108:111] offset:32
	v_mul_u32_u24_e32 v0, 3, v156
	v_lshlrev_b32_e32 v193, 4, v0
	ds_write_b128 v193, v[72:75]
	ds_write_b128 v193, v[76:79] offset:16
	ds_write_b128 v193, v[68:71] offset:32
	s_waitcnt lgkmcnt(0)
	s_barrier
	ds_read_b128 v[116:119], v192
	ds_read_b128 v[92:95], v192 offset:4752
	ds_read_b128 v[88:91], v192 offset:9504
	;; [unrolled: 1-line block ×4, first 2 shown]
	v_accvgpr_write_b32 a8, v18
	v_accvgpr_write_b32 a16, v30
	;; [unrolled: 1-line block ×4, first 2 shown]
	s_movk_i32 s0, 0x84
	v_accvgpr_write_b32 a5, v15
	v_accvgpr_write_b32 a6, v16
	;; [unrolled: 1-line block ×18, first 2 shown]
	v_cmp_gt_u16_e32 vcc, s0, v194
	s_and_saveexec_b64 s[0:1], vcc
	s_cbranch_execz .LBB0_3
; %bb.2:
	ds_read_b128 v[108:111], v192 offset:2640
	ds_read_b128 v[72:75], v192 offset:7392
	;; [unrolled: 1-line block ×5, first 2 shown]
.LBB0_3:
	s_or_b64 exec, exec, s[0:1]
	s_movk_i32 s0, 0xab
	v_mul_lo_u16_sdwa v0, v194, s0 dst_sel:DWORD dst_unused:UNUSED_PAD src0_sel:BYTE_0 src1_sel:DWORD
	v_lshrrev_b16_e32 v12, 9, v0
	v_mul_lo_u16_e32 v0, 3, v12
	v_sub_u16_e32 v0, v194, v0
	v_and_b32_e32 v13, 0xff, v0
	v_lshlrev_b32_e32 v0, 6, v13
	s_mov_b32 s0, 0xaaab
	global_load_dwordx4 v[48:51], v0, s[10:11]
	global_load_dwordx4 v[44:47], v0, s[10:11] offset:16
	global_load_dwordx4 v[36:39], v0, s[10:11] offset:48
	;; [unrolled: 1-line block ×3, first 2 shown]
	v_mul_u32_u24_sdwa v0, v158, s0 dst_sel:DWORD dst_unused:UNUSED_PAD src0_sel:WORD_0 src1_sel:DWORD
	v_lshrrev_b32_e32 v14, 17, v0
	v_mul_lo_u16_e32 v0, 3, v14
	v_sub_u16_e32 v15, v158, v0
	v_lshlrev_b16_e32 v0, 2, v15
	v_lshlrev_b32_e32 v0, 4, v0
	global_load_dwordx4 v[64:67], v0, s[10:11]
	global_load_dwordx4 v[60:63], v0, s[10:11] offset:16
	global_load_dwordx4 v[56:59], v0, s[10:11] offset:32
	;; [unrolled: 1-line block ×3, first 2 shown]
	s_mov_b32 s2, 0x134454ff
	s_mov_b32 s3, 0x3fee6f0e
	;; [unrolled: 1-line block ×10, first 2 shown]
	s_waitcnt lgkmcnt(0)
	s_barrier
	s_waitcnt vmcnt(7)
	v_mul_f64 v[0:1], v[94:95], v[50:51]
	s_waitcnt vmcnt(6)
	v_mul_f64 v[4:5], v[90:91], v[46:47]
	v_fma_f64 v[0:1], v[92:93], v[48:49], -v[0:1]
	s_waitcnt vmcnt(4)
	v_mul_f64 v[8:9], v[86:87], v[42:43]
	v_fma_f64 v[4:5], v[88:89], v[44:45], -v[4:5]
	v_mul_f64 v[6:7], v[88:89], v[46:47]
	v_mul_f64 v[10:11], v[84:85], v[42:43]
	s_waitcnt vmcnt(3)
	v_mul_f64 v[106:107], v[72:73], v[66:67]
	s_waitcnt vmcnt(2)
	v_mul_f64 v[112:113], v[78:79], v[62:63]
	v_mul_f64 v[104:105], v[74:75], v[66:67]
	;; [unrolled: 1-line block ×3, first 2 shown]
	v_fmac_f64_e32 v[106:107], v[74:75], v[64:65]
	v_fma_f64 v[74:75], v[76:77], v[60:61], -v[112:113]
	v_add_f64 v[76:77], v[116:117], v[0:1]
	v_mul_f64 v[100:101], v[82:83], v[38:39]
	v_fma_f64 v[8:9], v[84:85], v[40:41], -v[8:9]
	v_add_f64 v[76:77], v[76:77], v[4:5]
	v_mul_f64 v[102:103], v[80:81], v[38:39]
	v_fmac_f64_e32 v[6:7], v[90:91], v[44:45]
	v_fmac_f64_e32 v[10:11], v[86:87], v[40:41]
	v_fma_f64 v[80:81], v[80:81], v[36:37], -v[100:101]
	v_add_f64 v[76:77], v[76:77], v[8:9]
	v_mul_f64 v[2:3], v[92:93], v[50:51]
	v_add_f64 v[112:113], v[76:77], v[80:81]
	v_add_f64 v[76:77], v[6:7], v[10:11]
	v_fmac_f64_e32 v[2:3], v[94:95], v[48:49]
	v_fmac_f64_e32 v[102:103], v[82:83], v[36:37]
	v_add_f64 v[82:83], v[0:1], -v[4:5]
	v_add_f64 v[86:87], v[0:1], v[80:81]
	v_add_f64 v[88:89], v[4:5], -v[0:1]
	v_fma_f64 v[130:131], -0.5, v[76:77], v[118:119]
	v_add_f64 v[0:1], v[0:1], -v[80:81]
	v_fmac_f64_e32 v[148:149], v[78:79], v[60:61]
	v_add_f64 v[78:79], v[4:5], v[8:9]
	v_add_f64 v[84:85], v[80:81], -v[8:9]
	v_add_f64 v[90:91], v[8:9], -v[80:81]
	v_add_f64 v[4:5], v[4:5], -v[8:9]
	v_add_f64 v[8:9], v[2:3], -v[6:7]
	v_add_f64 v[76:77], v[102:103], -v[10:11]
	v_fma_f64 v[122:123], s[14:15], v[0:1], v[130:131]
	v_fmac_f64_e32 v[130:131], s[2:3], v[0:1]
	v_add_f64 v[8:9], v[8:9], v[76:77]
	v_fmac_f64_e32 v[122:123], s[16:17], v[4:5]
	v_fmac_f64_e32 v[130:131], s[0:1], v[4:5]
	s_waitcnt vmcnt(1)
	v_mul_f64 v[150:151], v[68:69], v[58:59]
	s_waitcnt vmcnt(0)
	v_mul_f64 v[120:121], v[98:99], v[54:55]
	v_fmac_f64_e32 v[122:123], s[18:19], v[8:9]
	v_fmac_f64_e32 v[130:131], s[18:19], v[8:9]
	v_add_f64 v[8:9], v[2:3], v[102:103]
	v_mul_f64 v[114:115], v[70:71], v[58:59]
	v_mul_f64 v[152:153], v[96:97], v[54:55]
	v_fmac_f64_e32 v[150:151], v[70:71], v[56:57]
	v_fma_f64 v[70:71], v[96:97], v[52:53], -v[120:121]
	v_add_f64 v[96:97], v[118:119], v[2:3]
	v_fmac_f64_e32 v[118:119], -0.5, v[8:9]
	v_fma_f64 v[68:69], v[68:69], v[56:57], -v[114:115]
	v_add_f64 v[92:93], v[2:3], -v[102:103]
	v_add_f64 v[94:95], v[6:7], -v[10:11]
	v_add_f64 v[82:83], v[82:83], v[84:85]
	v_add_f64 v[84:85], v[96:97], v[6:7]
	v_fma_f64 v[126:127], s[2:3], v[4:5], v[118:119]
	v_add_f64 v[2:3], v[6:7], -v[2:3]
	v_add_f64 v[6:7], v[10:11], -v[102:103]
	v_fmac_f64_e32 v[118:119], s[14:15], v[4:5]
	v_fma_f64 v[72:73], v[72:73], v[64:65], -v[104:105]
	v_fmac_f64_e32 v[152:153], v[98:99], v[52:53]
	v_fmac_f64_e32 v[126:127], s[16:17], v[0:1]
	v_add_f64 v[2:3], v[2:3], v[6:7]
	v_fmac_f64_e32 v[118:119], s[0:1], v[0:1]
	v_add_f64 v[0:1], v[74:75], v[68:69]
	v_fmac_f64_e32 v[126:127], s[18:19], v[2:3]
	v_fmac_f64_e32 v[118:119], s[18:19], v[2:3]
	v_fma_f64 v[136:137], -0.5, v[0:1], v[108:109]
	v_add_f64 v[0:1], v[106:107], -v[152:153]
	v_add_f64 v[2:3], v[72:73], -v[74:75]
	;; [unrolled: 1-line block ×3, first 2 shown]
	v_add_f64 v[2:3], v[2:3], v[4:5]
	v_fma_f64 v[132:133], s[2:3], v[0:1], v[136:137]
	v_add_f64 v[4:5], v[148:149], -v[150:151]
	v_fmac_f64_e32 v[136:137], s[14:15], v[0:1]
	v_fmac_f64_e32 v[132:133], s[0:1], v[4:5]
	;; [unrolled: 1-line block ×3, first 2 shown]
	v_add_f64 v[6:7], v[72:73], v[70:71]
	v_fmac_f64_e32 v[132:133], s[18:19], v[2:3]
	v_fmac_f64_e32 v[136:137], s[18:19], v[2:3]
	v_add_f64 v[2:3], v[108:109], v[72:73]
	v_fmac_f64_e32 v[108:109], -0.5, v[6:7]
	v_fma_f64 v[144:145], s[14:15], v[4:5], v[108:109]
	v_fmac_f64_e32 v[108:109], s[2:3], v[4:5]
	v_fmac_f64_e32 v[144:145], s[0:1], v[0:1]
	;; [unrolled: 1-line block ×3, first 2 shown]
	v_add_f64 v[0:1], v[2:3], v[74:75]
	v_add_f64 v[0:1], v[0:1], v[68:69]
	;; [unrolled: 1-line block ×3, first 2 shown]
	v_add_f64 v[6:7], v[74:75], -v[72:73]
	v_add_f64 v[8:9], v[68:69], -v[70:71]
	v_add_f64 v[2:3], v[2:3], v[148:149]
	v_add_f64 v[140:141], v[0:1], v[70:71]
	;; [unrolled: 1-line block ×5, first 2 shown]
	v_fma_f64 v[138:139], -0.5, v[0:1], v[110:111]
	v_add_f64 v[0:1], v[72:73], -v[70:71]
	v_fmac_f64_e32 v[144:145], s[18:19], v[6:7]
	v_fmac_f64_e32 v[108:109], s[18:19], v[6:7]
	v_add_f64 v[142:143], v[2:3], v[152:153]
	v_add_f64 v[2:3], v[74:75], -v[68:69]
	v_add_f64 v[4:5], v[106:107], -v[148:149]
	;; [unrolled: 1-line block ×3, first 2 shown]
	v_fma_f64 v[134:135], s[14:15], v[0:1], v[138:139]
	v_fmac_f64_e32 v[138:139], s[2:3], v[0:1]
	v_add_f64 v[4:5], v[4:5], v[6:7]
	v_fmac_f64_e32 v[134:135], s[16:17], v[2:3]
	v_fmac_f64_e32 v[138:139], s[0:1], v[2:3]
	v_fmac_f64_e32 v[134:135], s[18:19], v[4:5]
	v_fmac_f64_e32 v[138:139], s[18:19], v[4:5]
	v_add_f64 v[4:5], v[106:107], v[152:153]
	v_fmac_f64_e32 v[110:111], -0.5, v[4:5]
	v_fma_f64 v[128:129], -0.5, v[78:79], v[116:117]
	v_fmac_f64_e32 v[116:117], -0.5, v[86:87]
	v_fma_f64 v[146:147], s[2:3], v[2:3], v[110:111]
	v_fmac_f64_e32 v[110:111], s[14:15], v[2:3]
	v_fma_f64 v[120:121], s[2:3], v[92:93], v[128:129]
	v_fmac_f64_e32 v[128:129], s[14:15], v[92:93]
	;; [unrolled: 2-line block ×3, first 2 shown]
	v_fmac_f64_e32 v[146:147], s[16:17], v[0:1]
	v_add_f64 v[4:5], v[148:149], -v[106:107]
	v_add_f64 v[6:7], v[150:151], -v[152:153]
	v_fmac_f64_e32 v[110:111], s[0:1], v[0:1]
	v_mul_u32_u24_e32 v0, 15, v12
	v_add_f64 v[78:79], v[88:89], v[90:91]
	v_add_f64 v[84:85], v[84:85], v[10:11]
	v_fmac_f64_e32 v[120:121], s[0:1], v[94:95]
	v_fmac_f64_e32 v[128:129], s[16:17], v[94:95]
	v_fmac_f64_e32 v[124:125], s[0:1], v[92:93]
	v_fmac_f64_e32 v[116:117], s[16:17], v[92:93]
	v_add_f64 v[4:5], v[4:5], v[6:7]
	v_add_lshl_u32 v35, v0, v13, 4
	v_mad_legacy_u16 v0, v14, 15, v15
	v_fmac_f64_e32 v[120:121], s[18:19], v[82:83]
	v_fmac_f64_e32 v[128:129], s[18:19], v[82:83]
	;; [unrolled: 1-line block ×4, first 2 shown]
	v_add_f64 v[114:115], v[84:85], v[102:103]
	v_fmac_f64_e32 v[146:147], s[18:19], v[4:5]
	v_fmac_f64_e32 v[110:111], s[18:19], v[4:5]
	v_accvgpr_write_b32 a39, v0
	ds_write_b128 v35, v[112:115]
	ds_write_b128 v35, v[120:123] offset:48
	ds_write_b128 v35, v[124:127] offset:96
	;; [unrolled: 1-line block ×4, first 2 shown]
	s_and_saveexec_b64 s[0:1], vcc
	s_cbranch_execz .LBB0_5
; %bb.4:
	v_accvgpr_read_b32 v0, a39
	v_lshlrev_b32_e32 v0, 4, v0
	ds_write_b128 v0, v[140:143]
	ds_write_b128 v0, v[132:135] offset:48
	ds_write_b128 v0, v[144:147] offset:96
	;; [unrolled: 1-line block ×4, first 2 shown]
.LBB0_5:
	s_or_b64 exec, exec, s[0:1]
	s_movk_i32 s0, 0x87
	v_cmp_gt_u16_e64 s[0:1], s0, v194
	s_waitcnt lgkmcnt(0)
	s_barrier
	s_waitcnt lgkmcnt(0)
                                        ; implicit-def: $vgpr148_vgpr149
	s_and_saveexec_b64 s[2:3], s[0:1]
	s_cbranch_execz .LBB0_7
; %bb.6:
	ds_read_b128 v[112:115], v192
	ds_read_b128 v[120:123], v192 offset:2160
	ds_read_b128 v[124:127], v192 offset:4320
	;; [unrolled: 1-line block ×10, first 2 shown]
.LBB0_7:
	s_or_b64 exec, exec, s[2:3]
	s_movk_i32 s2, 0x89
	v_mul_lo_u16_sdwa v0, v194, s2 dst_sel:DWORD dst_unused:UNUSED_PAD src0_sel:BYTE_0 src1_sel:DWORD
	v_lshrrev_b16_e32 v195, 11, v0
	v_mul_lo_u16_e32 v0, 15, v195
	v_sub_u16_e32 v0, v194, v0
	v_and_b32_e32 v196, 0xff, v0
	s_movk_i32 s2, 0xa0
	v_mov_b64_e32 v[0:1], s[10:11]
	v_mad_u64_u32 v[0:1], s[2:3], v196, s2, v[0:1]
	global_load_dwordx4 v[68:71], v[0:1], off offset:192
	global_load_dwordx4 v[72:75], v[0:1], off offset:208
	;; [unrolled: 1-line block ×10, first 2 shown]
	s_mov_b32 s16, 0xf8bb580b
	s_mov_b32 s2, 0x8764f0ba
	;; [unrolled: 1-line block ×26, first 2 shown]
	s_waitcnt lgkmcnt(0)
	s_barrier
	s_waitcnt vmcnt(9)
	v_mul_f64 v[160:161], v[120:121], v[70:71]
	v_mul_f64 v[0:1], v[122:123], v[70:71]
	s_waitcnt vmcnt(8)
	v_mul_f64 v[162:163], v[124:125], v[74:75]
	v_fmac_f64_e32 v[160:161], v[122:123], v[68:69]
	v_mul_f64 v[2:3], v[126:127], v[74:75]
	s_waitcnt vmcnt(4)
	v_mul_f64 v[170:171], v[132:133], v[102:103]
	v_mul_f64 v[164:165], v[116:117], v[78:79]
	;; [unrolled: 1-line block ×3, first 2 shown]
	s_waitcnt vmcnt(1)
	v_mul_f64 v[176:177], v[136:137], v[94:95]
	s_waitcnt vmcnt(0)
	v_mul_f64 v[178:179], v[148:149], v[86:87]
	v_mul_f64 v[182:183], v[150:151], v[86:87]
	v_fmac_f64_e32 v[178:179], v[150:151], v[84:85]
	v_mul_f64 v[174:175], v[108:109], v[90:91]
	v_mul_f64 v[180:181], v[138:139], v[94:95]
	v_fma_f64 v[120:121], v[120:121], v[68:69], -v[0:1]
	v_fmac_f64_e32 v[162:163], v[126:127], v[72:73]
	v_fmac_f64_e32 v[170:171], v[134:135], v[100:101]
	;; [unrolled: 1-line block ×3, first 2 shown]
	v_fma_f64 v[134:135], v[148:149], v[84:85], -v[182:183]
	v_add_f64 v[190:191], v[160:161], -v[178:179]
	v_mul_f64 v[4:5], v[118:119], v[78:79]
	v_mul_f64 v[166:167], v[128:129], v[82:83]
	;; [unrolled: 1-line block ×4, first 2 shown]
	v_fma_f64 v[122:123], v[124:125], v[72:73], -v[2:3]
	v_fmac_f64_e32 v[164:165], v[118:119], v[76:77]
	v_fma_f64 v[126:127], v[132:133], v[100:101], -v[10:11]
	v_fmac_f64_e32 v[174:175], v[110:111], v[88:89]
	v_fma_f64 v[132:133], v[136:137], v[92:93], -v[180:181]
	v_add_f64 v[150:151], v[120:121], v[134:135]
	v_add_f64 v[184:185], v[120:121], -v[134:135]
	v_add_f64 v[206:207], v[162:163], -v[176:177]
	v_mul_f64 v[136:137], v[190:191], s[16:17]
	v_mul_f64 v[6:7], v[130:131], v[82:83]
	;; [unrolled: 1-line block ×4, first 2 shown]
	v_fma_f64 v[116:117], v[116:117], v[76:77], -v[4:5]
	v_fmac_f64_e32 v[166:167], v[130:131], v[80:81]
	v_fmac_f64_e32 v[172:173], v[146:147], v[96:97]
	v_fma_f64 v[130:131], v[108:109], v[88:89], -v[154:155]
	v_add_f64 v[202:203], v[160:161], v[178:179]
	v_add_f64 v[186:187], v[122:123], v[132:133]
	v_add_f64 v[198:199], v[122:123], -v[132:133]
	v_mul_f64 v[146:147], v[184:185], s[16:17]
	v_mul_f64 v[138:139], v[206:207], s[18:19]
	v_fma_f64 v[0:1], s[2:3], v[150:151], v[136:137]
	v_add_f64 v[220:221], v[164:165], -v[174:175]
	v_fma_f64 v[124:125], v[140:141], v[104:105], -v[8:9]
	v_add_f64 v[212:213], v[162:163], v[176:177]
	v_mul_f64 v[148:149], v[198:199], s[18:19]
	v_fma_f64 v[2:3], v[202:203], s[2:3], -v[146:147]
	v_fma_f64 v[8:9], s[14:15], v[186:187], v[138:139]
	v_add_f64 v[0:1], v[112:113], v[0:1]
	v_add_f64 v[208:209], v[116:117], v[130:131]
	v_add_f64 v[214:215], v[116:117], -v[130:131]
	v_mul_f64 v[188:189], v[220:221], s[28:29]
	v_mul_f64 v[168:169], v[140:141], v[106:107]
	v_fma_f64 v[118:119], v[128:129], v[80:81], -v[6:7]
	v_fma_f64 v[128:129], v[144:145], v[96:97], -v[152:153]
	;; [unrolled: 1-line block ×3, first 2 shown]
	v_add_f64 v[2:3], v[114:115], v[2:3]
	v_add_f64 v[0:1], v[8:9], v[0:1]
	;; [unrolled: 1-line block ×3, first 2 shown]
	v_mul_f64 v[200:201], v[214:215], s[28:29]
	v_fma_f64 v[8:9], s[24:25], v[208:209], v[188:189]
	v_add_f64 v[242:243], v[166:167], -v[172:173]
	v_fmac_f64_e32 v[168:169], v[142:143], v[104:105]
	v_add_f64 v[2:3], v[10:11], v[2:3]
	v_add_f64 v[0:1], v[8:9], v[0:1]
	v_fma_f64 v[8:9], v[226:227], s[24:25], -v[200:201]
	v_add_f64 v[222:223], v[118:119], v[128:129]
	v_add_f64 v[230:231], v[118:119], -v[128:129]
	v_mul_f64 v[204:205], v[242:243], s[26:27]
	v_add_f64 v[2:3], v[8:9], v[2:3]
	v_add_f64 v[250:251], v[166:167], v[172:173]
	v_mul_f64 v[210:211], v[230:231], s[26:27]
	v_fma_f64 v[8:9], s[22:23], v[222:223], v[204:205]
	v_add_f64 v[252:253], v[168:169], -v[170:171]
	v_add_f64 v[0:1], v[8:9], v[0:1]
	v_fma_f64 v[8:9], v[250:251], s[22:23], -v[210:211]
	v_add_f64 v[232:233], v[124:125], v[126:127]
	v_add_f64 v[246:247], v[124:125], -v[126:127]
	v_mul_f64 v[216:217], v[252:253], s[36:37]
	v_mul_f64 v[180:181], v[190:191], s[18:19]
	v_add_f64 v[2:3], v[8:9], v[2:3]
	v_add_f64 v[254:255], v[168:169], v[170:171]
	v_mul_f64 v[218:219], v[246:247], s[36:37]
	v_fma_f64 v[8:9], s[30:31], v[232:233], v[216:217]
	v_mul_f64 v[182:183], v[184:185], s[18:19]
	v_fma_f64 v[4:5], s[14:15], v[150:151], v[180:181]
	v_add_f64 v[140:141], v[8:9], v[0:1]
	v_fma_f64 v[0:1], v[254:255], s[30:31], -v[218:219]
	v_mul_f64 v[224:225], v[206:207], s[26:27]
	v_fma_f64 v[6:7], v[202:203], s[14:15], -v[182:183]
	v_add_f64 v[4:5], v[112:113], v[4:5]
	v_add_f64 v[142:143], v[0:1], v[2:3]
	v_fma_f64 v[0:1], s[22:23], v[186:187], v[224:225]
	v_mul_f64 v[234:235], v[198:199], s[26:27]
	v_mul_f64 v[228:229], v[220:221], s[34:35]
	v_add_f64 v[6:7], v[114:115], v[6:7]
	v_add_f64 v[0:1], v[0:1], v[4:5]
	v_fma_f64 v[2:3], v[212:213], s[22:23], -v[234:235]
	v_fma_f64 v[4:5], s[30:31], v[208:209], v[228:229]
	v_mul_f64 v[238:239], v[214:215], s[34:35]
	v_add_f64 v[2:3], v[2:3], v[6:7]
	v_add_f64 v[0:1], v[4:5], v[0:1]
	v_fma_f64 v[4:5], v[226:227], s[30:31], -v[238:239]
	v_mul_f64 v[236:237], v[242:243], s[38:39]
	v_add_f64 v[2:3], v[4:5], v[2:3]
	v_fma_f64 v[4:5], s[24:25], v[222:223], v[236:237]
	v_mul_f64 v[244:245], v[230:231], s[38:39]
	v_add_f64 v[0:1], v[4:5], v[0:1]
	v_fma_f64 v[4:5], v[250:251], s[24:25], -v[244:245]
	v_mul_f64 v[240:241], v[252:253], s[40:41]
	v_add_f64 v[2:3], v[4:5], v[2:3]
	v_fma_f64 v[4:5], s[2:3], v[232:233], v[240:241]
	v_mul_f64 v[248:249], v[246:247], s[40:41]
	v_add_f64 v[152:153], v[4:5], v[0:1]
	v_fma_f64 v[0:1], v[254:255], s[2:3], -v[248:249]
	v_add_f64 v[154:155], v[0:1], v[2:3]
	v_mov_b32_e32 v145, 0
	s_and_saveexec_b64 s[20:21], s[0:1]
	s_cbranch_execz .LBB0_9
; %bb.8:
	v_mul_f64 v[0:1], v[150:151], s[2:3]
	v_accvgpr_write_b32 a43, v1
	v_accvgpr_write_b32 a42, v0
	v_mul_f64 v[0:1], v[202:203], s[2:3]
	v_accvgpr_write_b32 a49, v1
	v_accvgpr_write_b32 a48, v0
	;; [unrolled: 3-line block ×16, first 2 shown]
	v_mul_f64 v[0:1], v[254:255], s[30:31]
	v_mul_f64 v[20:21], v[202:203], s[30:31]
	v_accvgpr_write_b32 a65, v1
	v_mul_f64 v[30:31], v[212:213], s[2:3]
	v_fma_f64 v[110:111], s[34:35], v[184:185], v[20:21]
	v_accvgpr_write_b32 a64, v0
	v_mul_f64 v[0:1], v[232:233], s[2:3]
	v_mul_f64 v[8:9], v[226:227], s[22:23]
	s_mov_b32 s45, 0x3fe82f19
	s_mov_b32 s44, s26
	v_fma_f64 v[108:109], s[16:17], v[198:199], v[30:31]
	v_add_f64 v[110:111], v[114:115], v[110:111]
	v_mov_b32_e32 v144, v194
	v_mov_b32_e32 v157, v195
	v_mul_f64 v[194:195], v[190:191], s[36:37]
	v_accvgpr_write_b32 a75, v1
	v_mul_f64 v[4:5], v[250:251], s[14:15]
	v_fma_f64 v[10:11], s[44:45], v[214:215], v[8:9]
	v_add_f64 v[108:109], v[108:109], v[110:111]
	v_mul_f64 v[14:15], v[206:207], s[40:41]
	v_fma_f64 v[12:13], s[30:31], v[150:151], v[194:195]
	v_accvgpr_write_b32 a74, v0
	v_mul_f64 v[0:1], v[254:255], s[24:25]
	v_fma_f64 v[6:7], s[18:19], v[230:231], v[4:5]
	v_add_f64 v[10:11], v[10:11], v[108:109]
	s_mov_b32 s43, 0x3fed1bb4
	s_mov_b32 s42, s18
	v_mul_f64 v[16:17], v[220:221], s[26:27]
	v_fma_f64 v[32:33], s[2:3], v[186:187], v[14:15]
	v_add_f64 v[12:13], v[112:113], v[12:13]
	v_fma_f64 v[2:3], s[38:39], v[246:247], v[0:1]
	v_add_f64 v[6:7], v[6:7], v[10:11]
	v_mul_f64 v[10:11], v[242:243], s[42:43]
	v_fma_f64 v[24:25], s[22:23], v[208:209], v[16:17]
	v_add_f64 v[12:13], v[32:33], v[12:13]
	v_add_f64 v[110:111], v[2:3], v[6:7]
	v_mul_f64 v[6:7], v[252:253], s[28:29]
	v_fma_f64 v[108:109], s[14:15], v[222:223], v[10:11]
	v_add_f64 v[12:13], v[24:25], v[12:13]
	v_fma_f64 v[2:3], s[24:25], v[232:233], v[6:7]
	v_add_f64 v[12:13], v[108:109], v[12:13]
	v_fmac_f64_e32 v[20:21], s[36:37], v[184:185]
	v_add_f64 v[108:109], v[2:3], v[12:13]
	v_fmac_f64_e32 v[30:31], s[40:41], v[198:199]
	v_add_f64 v[2:3], v[114:115], v[20:21]
	v_fmac_f64_e32 v[8:9], s[26:27], v[214:215]
	v_add_f64 v[2:3], v[30:31], v[2:3]
	v_fmac_f64_e32 v[4:5], s[42:43], v[230:231]
	v_add_f64 v[2:3], v[8:9], v[2:3]
	v_fmac_f64_e32 v[0:1], s[28:29], v[246:247]
	v_add_f64 v[2:3], v[4:5], v[2:3]
	v_fma_f64 v[4:5], v[222:223], s[14:15], -v[10:11]
	v_fma_f64 v[10:11], v[150:151], s[30:31], -v[194:195]
	v_mul_f64 v[24:25], v[202:203], s[22:23]
	v_add_f64 v[2:3], v[0:1], v[2:3]
	v_fma_f64 v[0:1], v[232:233], s[24:25], -v[6:7]
	v_fma_f64 v[6:7], v[208:209], s[22:23], -v[16:17]
	;; [unrolled: 1-line block ×3, first 2 shown]
	v_add_f64 v[10:11], v[112:113], v[10:11]
	v_mul_f64 v[16:17], v[212:213], s[24:25]
	v_fma_f64 v[30:31], s[44:45], v[184:185], v[24:25]
	v_accvgpr_write_b32 a36, v196
	v_accvgpr_write_b32 a37, v197
	v_mul_f64 v[196:197], v[190:191], s[26:27]
	v_add_f64 v[8:9], v[8:9], v[10:11]
	v_mul_f64 v[12:13], v[226:227], s[2:3]
	v_fma_f64 v[20:21], s[28:29], v[198:199], v[16:17]
	v_add_f64 v[30:31], v[114:115], v[30:31]
	v_mul_f64 v[18:19], v[206:207], s[38:39]
	v_fma_f64 v[28:29], s[22:23], v[150:151], v[196:197]
	v_fmac_f64_e32 v[24:25], s[26:27], v[184:185]
	v_add_f64 v[6:7], v[6:7], v[8:9]
	v_mul_f64 v[10:11], v[250:251], s[30:31]
	v_fma_f64 v[14:15], s[40:41], v[214:215], v[12:13]
	v_add_f64 v[20:21], v[20:21], v[30:31]
	v_mul_f64 v[32:33], v[220:221], s[16:17]
	v_fma_f64 v[26:27], s[24:25], v[186:187], v[18:19]
	v_add_f64 v[28:29], v[112:113], v[28:29]
	v_fmac_f64_e32 v[16:17], s[38:39], v[198:199]
	v_add_f64 v[24:25], v[114:115], v[24:25]
	v_add_f64 v[4:5], v[4:5], v[6:7]
	v_mul_f64 v[8:9], v[254:255], s[14:15]
	v_fma_f64 v[6:7], s[34:35], v[230:231], v[10:11]
	v_add_f64 v[14:15], v[14:15], v[20:21]
	v_mul_f64 v[20:21], v[242:243], s[36:37]
	v_fma_f64 v[194:195], s[2:3], v[208:209], v[32:33]
	v_add_f64 v[26:27], v[26:27], v[28:29]
	v_fmac_f64_e32 v[12:13], s[16:17], v[214:215]
	v_add_f64 v[16:17], v[16:17], v[24:25]
	v_add_f64 v[0:1], v[0:1], v[4:5]
	v_fma_f64 v[4:5], s[18:19], v[246:247], v[8:9]
	v_add_f64 v[6:7], v[6:7], v[14:15]
	v_mul_f64 v[14:15], v[252:253], s[42:43]
	v_fma_f64 v[30:31], s[30:31], v[222:223], v[20:21]
	v_add_f64 v[26:27], v[194:195], v[26:27]
	v_fmac_f64_e32 v[10:11], s[36:37], v[230:231]
	v_add_f64 v[12:13], v[12:13], v[16:17]
	v_fma_f64 v[16:17], v[186:187], s[24:25], -v[18:19]
	v_fma_f64 v[18:19], v[150:151], s[22:23], -v[196:197]
	v_add_f64 v[6:7], v[4:5], v[6:7]
	v_fma_f64 v[4:5], s[14:15], v[232:233], v[14:15]
	v_add_f64 v[26:27], v[30:31], v[26:27]
	v_fmac_f64_e32 v[8:9], s[42:43], v[246:247]
	v_add_f64 v[10:11], v[10:11], v[12:13]
	v_add_f64 v[18:19], v[112:113], v[18:19]
	v_mul_f64 v[30:31], v[202:203], s[24:25]
	v_add_f64 v[4:5], v[4:5], v[26:27]
	v_add_f64 v[10:11], v[8:9], v[10:11]
	v_fma_f64 v[8:9], v[232:233], s[14:15], -v[14:15]
	v_fma_f64 v[14:15], v[208:209], s[2:3], -v[32:33]
	v_add_f64 v[16:17], v[16:17], v[18:19]
	v_mul_f64 v[26:27], v[212:213], s[30:31]
	v_fma_f64 v[32:33], s[38:39], v[184:185], v[30:31]
	v_fma_f64 v[12:13], v[222:223], s[30:31], -v[20:21]
	v_add_f64 v[14:15], v[14:15], v[16:17]
	v_mul_f64 v[20:21], v[226:227], s[14:15]
	v_fma_f64 v[28:29], s[36:37], v[198:199], v[26:27]
	v_add_f64 v[32:33], v[114:115], v[32:33]
	v_mul_f64 v[190:191], v[190:191], s[28:29]
	v_add_f64 v[12:13], v[12:13], v[14:15]
	v_mul_f64 v[16:17], v[250:251], s[2:3]
	v_fma_f64 v[24:25], s[18:19], v[214:215], v[20:21]
	v_add_f64 v[28:29], v[28:29], v[32:33]
	v_mul_f64 v[196:197], v[206:207], s[34:35]
	v_fma_f64 v[206:207], s[24:25], v[150:151], v[190:191]
	;; [unrolled: 3-line block ×4, first 2 shown]
	v_add_f64 v[206:207], v[112:113], v[206:207]
	v_fma_f64 v[14:15], s[44:45], v[246:247], v[12:13]
	v_add_f64 v[18:19], v[18:19], v[24:25]
	v_mul_f64 v[24:25], v[242:243], s[16:17]
	v_fma_f64 v[194:195], s[14:15], v[208:209], v[32:33]
	v_add_f64 v[202:203], v[202:203], v[206:207]
	v_mul_f64 v[22:23], v[254:255], s[2:3]
	v_add_f64 v[254:255], v[14:15], v[18:19]
	v_mul_f64 v[14:15], v[252:253], s[26:27]
	v_fma_f64 v[28:29], s[2:3], v[222:223], v[24:25]
	v_add_f64 v[194:195], v[194:195], v[202:203]
	v_fma_f64 v[18:19], s[22:23], v[232:233], v[14:15]
	v_add_f64 v[28:29], v[28:29], v[194:195]
	v_fmac_f64_e32 v[30:31], s[28:29], v[184:185]
	v_add_f64 v[252:253], v[18:19], v[28:29]
	v_fmac_f64_e32 v[26:27], s[34:35], v[198:199]
	;; [unrolled: 2-line block ×4, first 2 shown]
	v_add_f64 v[18:19], v[20:21], v[18:19]
	v_fma_f64 v[20:21], v[150:151], s[24:25], -v[190:191]
	v_fmac_f64_e32 v[12:13], s[26:27], v[246:247]
	v_add_f64 v[16:17], v[16:17], v[18:19]
	v_fma_f64 v[18:19], v[186:187], s[30:31], -v[196:197]
	v_add_f64 v[20:21], v[112:113], v[20:21]
	v_add_f64 v[214:215], v[12:13], v[16:17]
	v_fma_f64 v[16:17], v[208:209], s[14:15], -v[32:33]
	v_add_f64 v[18:19], v[18:19], v[20:21]
	v_accvgpr_read_b32 v20, a68
	v_fma_f64 v[12:13], v[232:233], s[22:23], -v[14:15]
	v_fma_f64 v[14:15], v[222:223], s[2:3], -v[24:25]
	v_add_f64 v[16:17], v[16:17], v[18:19]
	v_accvgpr_read_b32 v18, a72
	v_accvgpr_read_b32 v21, a69
	v_add_f64 v[14:15], v[14:15], v[16:17]
	v_accvgpr_read_b32 v16, a76
	v_accvgpr_read_b32 v19, a73
	v_add_f64 v[20:21], v[182:183], v[20:21]
	v_accvgpr_read_b32 v17, a77
	v_add_f64 v[18:19], v[234:235], v[18:19]
	v_add_f64 v[20:21], v[114:115], v[20:21]
	v_accvgpr_write_b32 a40, v158
	v_mul_f64 v[158:159], v[250:251], s[24:25]
	v_add_f64 v[16:17], v[238:239], v[16:17]
	v_add_f64 v[18:19], v[18:19], v[20:21]
	v_accvgpr_read_b32 v20, a58
	v_add_f64 v[212:213], v[12:13], v[14:15]
	v_add_f64 v[14:15], v[244:245], v[158:159]
	;; [unrolled: 1-line block ×3, first 2 shown]
	v_accvgpr_read_b32 v18, a62
	v_accvgpr_read_b32 v21, a59
	v_add_f64 v[12:13], v[248:249], v[22:23]
	v_add_f64 v[14:15], v[14:15], v[16:17]
	v_accvgpr_read_b32 v16, a66
	v_accvgpr_read_b32 v19, a63
	v_add_f64 v[20:21], v[20:21], -v[180:181]
	v_add_f64 v[182:183], v[12:13], v[14:15]
	v_accvgpr_read_b32 v14, a70
	v_accvgpr_read_b32 v17, a67
	v_add_f64 v[18:19], v[18:19], -v[224:225]
	;; [unrolled: 4-line block ×5, first 2 shown]
	v_add_f64 v[14:15], v[14:15], v[16:17]
	v_accvgpr_read_b32 v16, a56
	v_accvgpr_read_b32 v19, a53
	v_add_f64 v[20:21], v[146:147], v[20:21]
	v_add_f64 v[180:181], v[12:13], v[14:15]
	v_accvgpr_read_b32 v14, a60
	v_accvgpr_read_b32 v17, a57
	v_add_f64 v[18:19], v[148:149], v[18:19]
	;; [unrolled: 4-line block ×5, first 2 shown]
	v_add_f64 v[14:15], v[14:15], v[16:17]
	v_accvgpr_read_b32 v16, a46
	v_accvgpr_read_b32 v19, a45
	v_add_f64 v[20:21], v[20:21], -v[136:137]
	v_add_f64 v[148:149], v[12:13], v[14:15]
	v_accvgpr_read_b32 v14, a50
	v_accvgpr_read_b32 v17, a47
	v_add_f64 v[18:19], v[18:19], -v[138:139]
	;; [unrolled: 4-line block ×3, first 2 shown]
	v_add_f64 v[18:19], v[18:19], v[20:21]
	v_accvgpr_read_b32 v13, a55
	v_add_f64 v[14:15], v[14:15], -v[204:205]
	v_add_f64 v[16:17], v[16:17], v[18:19]
	v_add_f64 v[12:13], v[12:13], -v[216:217]
	v_add_f64 v[14:15], v[14:15], v[16:17]
	v_add_f64 v[146:147], v[12:13], v[14:15]
	;; [unrolled: 1-line block ×20, first 2 shown]
	v_mov_b32_e32 v195, v157
	v_add_f64 v[12:13], v[12:13], v[132:133]
	v_accvgpr_read_b32 v196, a36
	v_add_f64 v[112:113], v[12:13], v[134:135]
	v_mul_u32_u24_e32 v12, 0xa5, v195
	v_mov_b32_e32 v194, v144
	v_accvgpr_read_b32 v197, a37
	v_accvgpr_read_b32 v158, a40
	v_add_lshl_u32 v12, v12, v196, 4
	ds_write_b128 v12, v[112:115]
	ds_write_b128 v12, v[146:149] offset:240
	ds_write_b128 v12, v[180:183] offset:480
	;; [unrolled: 1-line block ×10, first 2 shown]
.LBB0_9:
	s_or_b64 exec, exec, s[20:21]
	s_mov_b32 s2, 0x8d31
	v_mul_u32_u24_sdwa v0, v156, s2 dst_sel:DWORD dst_unused:UNUSED_PAD src0_sel:WORD_0 src1_sel:DWORD
	v_sub_u16_sdwa v1, v156, v0 dst_sel:DWORD dst_unused:UNUSED_PAD src0_sel:DWORD src1_sel:WORD_1
	v_lshrrev_b16_e32 v1, 1, v1
	v_lshlrev_b32_e32 v144, 4, v194
	v_add_u16_sdwa v0, v1, v0 dst_sel:DWORD dst_unused:UNUSED_PAD src0_sel:DWORD src1_sel:WORD_1
	v_lshl_add_u64 v[164:165], s[8:9], 0, v[144:145]
	v_lshlrev_b32_e32 v144, 5, v194
	v_lshrrev_b16_e32 v0, 7, v0
	s_waitcnt lgkmcnt(0)
	s_barrier
	global_load_dwordx4 v[112:115], v144, s[10:11] offset:2592
	global_load_dwordx4 v[108:111], v144, s[10:11] offset:2608
	v_mul_lo_u16_e32 v0, 0xa5, v0
	v_sub_u16_e32 v157, v156, v0
	v_lshl_add_u64 v[124:125], s[10:11], 0, v[144:145]
	v_lshlrev_b16_e32 v144, 5, v157
	v_lshl_add_u64 v[0:1], s[10:11], 0, v[144:145]
	global_load_dwordx4 v[120:123], v[0:1], off offset:2592
	global_load_dwordx4 v[116:119], v[0:1], off offset:2608
	ds_read_b128 v[0:3], v192
	ds_read_b128 v[4:7], v192 offset:2640
	ds_read_b128 v[8:11], v192 offset:15840
	ds_read_b128 v[126:129], v192 offset:18480
	ds_read_b128 v[130:133], v192 offset:7920
	ds_read_b128 v[134:137], v192 offset:5280
	ds_read_b128 v[146:149], v192 offset:10560
	ds_read_b128 v[160:163], v192 offset:13200
	ds_read_b128 v[166:169], v192 offset:21120
	s_mov_b32 s8, 0xe8584caa
	s_mov_b32 s9, 0x3febb67a
	;; [unrolled: 1-line block ×4, first 2 shown]
	s_movk_i32 s18, 0x1000
	s_waitcnt lgkmcnt(0)
	s_barrier
	s_mov_b64 s[16:17], 0x1ec0
	v_lshlrev_b32_e32 v198, 4, v157
	v_lshlrev_b32_e32 v144, 5, v158
	s_waitcnt vmcnt(3)
	v_mul_f64 v[14:15], v[130:131], v[114:115]
	s_waitcnt vmcnt(2)
	v_mul_f64 v[18:19], v[8:9], v[110:111]
	v_mul_f64 v[12:13], v[132:133], v[114:115]
	;; [unrolled: 1-line block ×4, first 2 shown]
	v_fmac_f64_e32 v[14:15], v[132:133], v[112:113]
	v_fmac_f64_e32 v[18:19], v[10:11], v[108:109]
	v_mul_f64 v[22:23], v[146:147], v[114:115]
	v_mul_f64 v[24:25], v[128:129], v[110:111]
	;; [unrolled: 1-line block ×3, first 2 shown]
	v_fma_f64 v[12:13], v[130:131], v[112:113], -v[12:13]
	v_fma_f64 v[8:9], v[8:9], v[108:109], -v[16:17]
	;; [unrolled: 1-line block ×3, first 2 shown]
	v_add_f64 v[28:29], v[14:15], -v[18:19]
	v_add_f64 v[30:31], v[2:3], v[14:15]
	v_add_f64 v[14:15], v[14:15], v[18:19]
	v_fmac_f64_e32 v[22:23], v[148:149], v[112:113]
	v_fma_f64 v[16:17], v[126:127], v[108:109], -v[24:25]
	v_fmac_f64_e32 v[26:27], v[128:129], v[108:109]
	v_add_f64 v[20:21], v[0:1], v[12:13]
	v_add_f64 v[24:25], v[12:13], v[8:9]
	v_add_f64 v[12:13], v[12:13], -v[8:9]
	v_add_f64 v[32:33], v[4:5], v[10:11]
	v_fmac_f64_e32 v[2:3], -0.5, v[14:15]
	v_add_f64 v[128:129], v[10:11], v[16:17]
	v_add_f64 v[138:139], v[22:23], -v[26:27]
	v_add_f64 v[130:131], v[6:7], v[22:23]
	v_add_f64 v[22:23], v[22:23], v[26:27]
	v_add_f64 v[150:151], v[10:11], -v[16:17]
	v_add_f64 v[10:11], v[30:31], v[18:19]
	v_add_f64 v[126:127], v[32:33], v[16:17]
	v_fma_f64 v[132:133], s[14:15], v[12:13], v[2:3]
	v_fmac_f64_e32 v[2:3], s[8:9], v[12:13]
	s_waitcnt vmcnt(1)
	v_mul_f64 v[12:13], v[162:163], v[122:123]
	v_mul_f64 v[14:15], v[160:161], v[122:123]
	s_waitcnt vmcnt(0)
	v_mul_f64 v[16:17], v[168:169], v[118:119]
	v_mul_f64 v[18:19], v[166:167], v[118:119]
	v_add_f64 v[8:9], v[20:21], v[8:9]
	v_fmac_f64_e32 v[0:1], -0.5, v[24:25]
	v_fmac_f64_e32 v[4:5], -0.5, v[128:129]
	;; [unrolled: 1-line block ×3, first 2 shown]
	v_fma_f64 v[12:13], v[160:161], v[120:121], -v[12:13]
	v_fmac_f64_e32 v[14:15], v[162:163], v[120:121]
	v_fma_f64 v[16:17], v[166:167], v[116:117], -v[16:17]
	v_fmac_f64_e32 v[18:19], v[168:169], v[116:117]
	v_add_f64 v[128:129], v[130:131], v[26:27]
	v_fma_f64 v[130:131], s[8:9], v[28:29], v[0:1]
	v_fmac_f64_e32 v[0:1], s[14:15], v[28:29]
	v_fma_f64 v[146:147], s[8:9], v[138:139], v[4:5]
	v_fmac_f64_e32 v[4:5], s[14:15], v[138:139]
	;; [unrolled: 2-line block ×3, first 2 shown]
	v_add_f64 v[20:21], v[134:135], v[12:13]
	v_add_f64 v[22:23], v[12:13], v[16:17]
	v_add_f64 v[24:25], v[14:15], -v[18:19]
	v_add_f64 v[26:27], v[136:137], v[14:15]
	v_add_f64 v[14:15], v[14:15], v[18:19]
	ds_write_b128 v192, v[8:11]
	ds_write_b128 v192, v[130:133] offset:2640
	ds_write_b128 v192, v[0:3] offset:5280
	;; [unrolled: 1-line block ×5, first 2 shown]
	v_add_co_u32_e64 v2, s[2:3], s18, v124
	v_add_f64 v[160:161], v[20:21], v[16:17]
	v_fmac_f64_e32 v[134:135], -0.5, v[22:23]
	v_add_f64 v[162:163], v[26:27], v[18:19]
	v_fmac_f64_e32 v[136:137], -0.5, v[14:15]
	v_add_f64 v[12:13], v[12:13], -v[16:17]
	v_lshl_add_u64 v[0:1], v[124:125], 0, s[16:17]
	v_addc_co_u32_e64 v3, s[2:3], 0, v125, s[2:3]
	v_fma_f64 v[166:167], s[8:9], v[24:25], v[134:135]
	v_fmac_f64_e32 v[134:135], s[14:15], v[24:25]
	v_fma_f64 v[168:169], s[14:15], v[12:13], v[136:137]
	v_fmac_f64_e32 v[136:137], s[8:9], v[12:13]
	ds_write_b128 v198, v[160:163] offset:15840
	ds_write_b128 v198, v[166:169] offset:18480
	;; [unrolled: 1-line block ×3, first 2 shown]
	s_waitcnt lgkmcnt(0)
	s_barrier
	global_load_dwordx4 v[124:127], v[2:3], off offset:3776
	global_load_dwordx4 v[128:131], v[0:1], off offset:16
	v_lshl_add_u64 v[0:1], s[10:11], 0, v[144:145]
	v_lshl_add_u64 v[2:3], v[0:1], 0, s[16:17]
	v_add_co_u32_e64 v0, s[2:3], s18, v0
	v_lshlrev_b32_e32 v144, 5, v156
	s_nop 0
	v_addc_co_u32_e64 v1, s[2:3], 0, v1, s[2:3]
	global_load_dwordx4 v[132:135], v[0:1], off offset:3776
	global_load_dwordx4 v[136:139], v[2:3], off offset:16
	v_lshl_add_u64 v[0:1], s[10:11], 0, v[144:145]
	v_add_co_u32_e64 v2, s[2:3], s18, v0
	s_nop 1
	v_addc_co_u32_e64 v3, s[2:3], 0, v1, s[2:3]
	global_load_dwordx4 v[144:147], v[2:3], off offset:3776
	v_lshl_add_u64 v[0:1], v[0:1], 0, s[16:17]
	global_load_dwordx4 v[148:151], v[0:1], off offset:16
	ds_read_b128 v[0:3], v192
	ds_read_b128 v[4:7], v192 offset:2640
	ds_read_b128 v[8:11], v192 offset:15840
	;; [unrolled: 1-line block ×8, first 2 shown]
	s_movk_i32 s2, 0x5000
	s_waitcnt vmcnt(5) lgkmcnt(4)
	v_mul_f64 v[12:13], v[162:163], v[126:127]
	s_waitcnt vmcnt(4)
	v_mul_f64 v[16:17], v[10:11], v[130:131]
	v_mul_f64 v[14:15], v[160:161], v[126:127]
	;; [unrolled: 1-line block ×3, first 2 shown]
	v_fma_f64 v[12:13], v[160:161], v[124:125], -v[12:13]
	v_fma_f64 v[16:17], v[8:9], v[128:129], -v[16:17]
	v_fmac_f64_e32 v[14:15], v[162:163], v[124:125]
	v_fmac_f64_e32 v[18:19], v[10:11], v[128:129]
	v_add_f64 v[10:11], v[12:13], v[16:17]
	s_waitcnt vmcnt(2)
	v_mul_f64 v[24:25], v[158:159], v[138:139]
	v_add_f64 v[8:9], v[0:1], v[12:13]
	v_fmac_f64_e32 v[0:1], -0.5, v[10:11]
	v_add_f64 v[10:11], v[14:15], -v[18:19]
	s_waitcnt lgkmcnt(2)
	v_mul_f64 v[20:21], v[172:173], v[134:135]
	v_mul_f64 v[26:27], v[156:157], v[138:139]
	v_fma_f64 v[24:25], v[156:157], v[136:137], -v[24:25]
	v_fma_f64 v[156:157], s[8:9], v[10:11], v[0:1]
	v_fmac_f64_e32 v[0:1], s[14:15], v[10:11]
	v_add_f64 v[10:11], v[2:3], v[14:15]
	v_add_f64 v[14:15], v[14:15], v[18:19]
	v_fma_f64 v[20:21], v[170:171], v[132:133], -v[20:21]
	v_fmac_f64_e32 v[2:3], -0.5, v[14:15]
	v_add_f64 v[12:13], v[12:13], -v[16:17]
	v_mul_f64 v[22:23], v[170:171], v[134:135]
	v_fmac_f64_e32 v[26:27], v[158:159], v[136:137]
	v_fma_f64 v[158:159], s[14:15], v[12:13], v[2:3]
	v_fmac_f64_e32 v[2:3], s[8:9], v[12:13]
	v_add_f64 v[12:13], v[4:5], v[20:21]
	v_fmac_f64_e32 v[22:23], v[172:173], v[132:133]
	v_add_f64 v[160:161], v[12:13], v[24:25]
	v_add_f64 v[12:13], v[20:21], v[24:25]
	v_fmac_f64_e32 v[4:5], -0.5, v[12:13]
	v_add_f64 v[12:13], v[22:23], -v[26:27]
	v_fma_f64 v[170:171], s[8:9], v[12:13], v[4:5]
	v_fmac_f64_e32 v[4:5], s[14:15], v[12:13]
	v_add_f64 v[12:13], v[6:7], v[22:23]
	s_waitcnt vmcnt(1) lgkmcnt(1)
	v_mul_f64 v[28:29], v[176:177], v[146:147]
	v_add_f64 v[162:163], v[12:13], v[26:27]
	v_add_f64 v[12:13], v[22:23], v[26:27]
	s_waitcnt vmcnt(0) lgkmcnt(0)
	v_mul_f64 v[32:33], v[180:181], v[150:151]
	v_fma_f64 v[28:29], v[174:175], v[144:145], -v[28:29]
	v_fmac_f64_e32 v[6:7], -0.5, v[12:13]
	v_add_f64 v[12:13], v[20:21], -v[24:25]
	v_mul_f64 v[30:31], v[174:175], v[146:147]
	v_mul_f64 v[182:183], v[178:179], v[150:151]
	v_fma_f64 v[32:33], v[178:179], v[148:149], -v[32:33]
	v_fma_f64 v[172:173], s[14:15], v[12:13], v[6:7]
	v_fmac_f64_e32 v[6:7], s[8:9], v[12:13]
	v_add_f64 v[12:13], v[166:167], v[28:29]
	v_fmac_f64_e32 v[30:31], v[176:177], v[144:145]
	v_fmac_f64_e32 v[182:183], v[180:181], v[148:149]
	v_add_f64 v[174:175], v[12:13], v[32:33]
	v_add_f64 v[12:13], v[28:29], v[32:33]
	v_fmac_f64_e32 v[166:167], -0.5, v[12:13]
	v_add_f64 v[12:13], v[30:31], -v[182:183]
	v_fma_f64 v[178:179], s[8:9], v[12:13], v[166:167]
	v_fmac_f64_e32 v[166:167], s[14:15], v[12:13]
	v_add_f64 v[12:13], v[168:169], v[30:31]
	v_add_f64 v[176:177], v[12:13], v[182:183]
	v_add_f64 v[12:13], v[30:31], v[182:183]
	v_add_f64 v[8:9], v[8:9], v[16:17]
	v_add_f64 v[10:11], v[10:11], v[18:19]
	v_fmac_f64_e32 v[168:169], -0.5, v[12:13]
	v_add_f64 v[12:13], v[28:29], -v[32:33]
	v_fma_f64 v[180:181], s[14:15], v[12:13], v[168:169]
	v_fmac_f64_e32 v[168:169], s[8:9], v[12:13]
	ds_write_b128 v192, v[8:11]
	ds_write_b128 v192, v[156:159] offset:7920
	ds_write_b128 v192, v[0:3] offset:15840
	;; [unrolled: 1-line block ×8, first 2 shown]
	v_add_co_u32_e64 v0, s[2:3], s2, v164
	s_waitcnt lgkmcnt(0)
	s_nop 0
	v_addc_co_u32_e64 v1, s[2:3], 0, v165, s[2:3]
	s_movk_i32 s2, 0x7000
	s_barrier
	global_load_dwordx4 v[156:159], v[0:1], off offset:3280
	v_add_co_u32_e64 v12, s[2:3], s2, v164
	s_nop 1
	v_addc_co_u32_e64 v13, s[2:3], 0, v165, s[2:3]
	s_mov_b32 s2, 0x9000
	s_nop 0
	v_add_co_u32_e64 v14, s[2:3], s2, v164
	global_load_dwordx4 v[160:163], v[12:13], off offset:3008
	s_nop 0
	v_addc_co_u32_e64 v15, s[2:3], 0, v165, s[2:3]
	s_mov_b64 s[2:3], 0x5cd0
	s_nop 0
	v_lshl_add_u64 v[4:5], v[164:165], 0, s[2:3]
	global_load_dwordx4 v[4:7], v[4:5], off offset:2640
	s_mov_b32 s2, 0x8000
	global_load_dwordx4 v[0:3], v[14:15], off offset:2736
	v_add_co_u32_e64 v8, s[2:3], s2, v164
	s_nop 1
	v_addc_co_u32_e64 v9, s[2:3], 0, v165, s[2:3]
	global_load_dwordx4 v[8:11], v[8:9], off offset:1552
	s_mov_b32 s2, 0xa000
	v_add_co_u32_e64 v16, s[2:3], s2, v164
	s_nop 1
	v_addc_co_u32_e64 v17, s[2:3], 0, v165, s[2:3]
	global_load_dwordx4 v[164:167], v[16:17], off offset:1280
	global_load_dwordx4 v[168:171], v[12:13], off offset:368
	;; [unrolled: 1-line block ×4, first 2 shown]
	ds_read_b128 v[180:183], v192
	ds_read_b128 v[184:187], v192 offset:2640
	ds_read_b128 v[200:203], v192 offset:7920
	s_waitcnt vmcnt(8) lgkmcnt(2)
	v_mul_f64 v[12:13], v[182:183], v[158:159]
	v_mul_f64 v[190:191], v[180:181], v[158:159]
	v_fma_f64 v[188:189], v[180:181], v[156:157], -v[12:13]
	v_fmac_f64_e32 v[190:191], v[182:183], v[156:157]
	ds_read_b128 v[156:159], v192 offset:5280
	ds_write_b128 v192, v[188:191]
	ds_read_b128 v[188:191], v192 offset:15840
	s_waitcnt vmcnt(7) lgkmcnt(3)
	v_mul_f64 v[12:13], v[202:203], v[162:163]
	v_mul_f64 v[182:183], v[200:201], v[162:163]
	v_fma_f64 v[180:181], v[200:201], v[160:161], -v[12:13]
	v_fmac_f64_e32 v[182:183], v[202:203], v[160:161]
	ds_read_b128 v[160:163], v192 offset:18480
	ds_write_b128 v192, v[180:183] offset:7920
	s_waitcnt vmcnt(5) lgkmcnt(2)
	v_mul_f64 v[12:13], v[190:191], v[2:3]
	v_mul_f64 v[182:183], v[188:189], v[2:3]
	v_fma_f64 v[180:181], v[188:189], v[0:1], -v[12:13]
	v_fmac_f64_e32 v[182:183], v[190:191], v[0:1]
	ds_write_b128 v192, v[180:183] offset:15840
	ds_read_b128 v[180:183], v192 offset:10560
	v_mul_f64 v[0:1], v[186:187], v[6:7]
	v_mul_f64 v[2:3], v[184:185], v[6:7]
	v_fma_f64 v[0:1], v[184:185], v[4:5], -v[0:1]
	v_fmac_f64_e32 v[2:3], v[186:187], v[4:5]
	ds_write_b128 v192, v[0:3] offset:2640
	ds_read_b128 v[0:3], v192 offset:13200
	s_waitcnt vmcnt(4) lgkmcnt(2)
	v_mul_f64 v[4:5], v[182:183], v[10:11]
	v_mul_f64 v[6:7], v[180:181], v[10:11]
	v_fma_f64 v[4:5], v[180:181], v[8:9], -v[4:5]
	v_fmac_f64_e32 v[6:7], v[182:183], v[8:9]
	ds_write_b128 v192, v[4:7] offset:10560
	s_waitcnt vmcnt(3)
	v_mul_f64 v[4:5], v[162:163], v[166:167]
	v_mul_f64 v[6:7], v[160:161], v[166:167]
	v_fma_f64 v[4:5], v[160:161], v[164:165], -v[4:5]
	v_fmac_f64_e32 v[6:7], v[162:163], v[164:165]
	ds_write_b128 v192, v[4:7] offset:18480
	s_waitcnt vmcnt(2)
	v_mul_f64 v[4:5], v[158:159], v[170:171]
	v_mul_f64 v[6:7], v[156:157], v[170:171]
	v_fma_f64 v[4:5], v[156:157], v[168:169], -v[4:5]
	v_fmac_f64_e32 v[6:7], v[158:159], v[168:169]
	ds_write_b128 v192, v[4:7] offset:5280
	ds_read_b128 v[4:7], v192 offset:21120
	s_waitcnt vmcnt(1) lgkmcnt(4)
	v_mul_f64 v[8:9], v[2:3], v[174:175]
	v_mul_f64 v[10:11], v[0:1], v[174:175]
	v_fma_f64 v[8:9], v[0:1], v[172:173], -v[8:9]
	v_fmac_f64_e32 v[10:11], v[2:3], v[172:173]
	s_waitcnt vmcnt(0) lgkmcnt(0)
	v_mul_f64 v[0:1], v[6:7], v[178:179]
	v_mul_f64 v[2:3], v[4:5], v[178:179]
	v_fma_f64 v[0:1], v[4:5], v[176:177], -v[0:1]
	v_fmac_f64_e32 v[2:3], v[6:7], v[176:177]
	ds_write_b128 v192, v[8:11] offset:13200
	ds_write_b128 v192, v[0:3] offset:21120
	s_waitcnt lgkmcnt(0)
	s_barrier
	ds_read_b128 v[0:3], v192
	ds_read_b128 v[156:159], v192 offset:2640
	ds_read_b128 v[4:7], v192 offset:15840
	;; [unrolled: 1-line block ×8, first 2 shown]
	s_waitcnt lgkmcnt(4)
	v_add_f64 v[12:13], v[0:1], v[160:161]
	v_add_f64 v[182:183], v[12:13], v[4:5]
	;; [unrolled: 1-line block ×3, first 2 shown]
	v_fmac_f64_e32 v[0:1], -0.5, v[12:13]
	v_add_f64 v[12:13], v[162:163], -v[6:7]
	v_fma_f64 v[186:187], s[14:15], v[12:13], v[0:1]
	v_fmac_f64_e32 v[0:1], s[8:9], v[12:13]
	v_add_f64 v[12:13], v[2:3], v[162:163]
	v_add_f64 v[184:185], v[12:13], v[6:7]
	;; [unrolled: 1-line block ×3, first 2 shown]
	v_fmac_f64_e32 v[2:3], -0.5, v[6:7]
	v_add_f64 v[4:5], v[160:161], -v[4:5]
	s_waitcnt lgkmcnt(2)
	v_add_f64 v[6:7], v[168:169], v[8:9]
	v_fma_f64 v[188:189], s[8:9], v[4:5], v[2:3]
	v_fmac_f64_e32 v[2:3], s[14:15], v[4:5]
	v_add_f64 v[4:5], v[156:157], v[168:169]
	v_fmac_f64_e32 v[156:157], -0.5, v[6:7]
	v_add_f64 v[6:7], v[170:171], -v[10:11]
	v_fma_f64 v[160:161], s[14:15], v[6:7], v[156:157]
	v_fmac_f64_e32 v[156:157], s[8:9], v[6:7]
	v_add_f64 v[6:7], v[158:159], v[170:171]
	v_add_f64 v[6:7], v[6:7], v[10:11]
	;; [unrolled: 1-line block ×4, first 2 shown]
	v_fmac_f64_e32 v[158:159], -0.5, v[10:11]
	v_add_f64 v[8:9], v[168:169], -v[8:9]
	v_fma_f64 v[162:163], s[8:9], v[8:9], v[158:159]
	v_fmac_f64_e32 v[158:159], s[14:15], v[8:9]
	s_waitcnt lgkmcnt(1)
	v_add_f64 v[8:9], v[164:165], v[174:175]
	s_waitcnt lgkmcnt(0)
	v_add_f64 v[168:169], v[8:9], v[178:179]
	v_add_f64 v[8:9], v[174:175], v[178:179]
	v_fmac_f64_e32 v[164:165], -0.5, v[8:9]
	v_add_f64 v[8:9], v[176:177], -v[180:181]
	v_fma_f64 v[172:173], s[14:15], v[8:9], v[164:165]
	v_fmac_f64_e32 v[164:165], s[8:9], v[8:9]
	v_add_f64 v[8:9], v[166:167], v[176:177]
	v_add_f64 v[170:171], v[8:9], v[180:181]
	;; [unrolled: 1-line block ×3, first 2 shown]
	v_fmac_f64_e32 v[166:167], -0.5, v[8:9]
	v_add_f64 v[8:9], v[174:175], -v[178:179]
	s_barrier
	ds_write_b128 v197, v[182:185]
	ds_write_b128 v197, v[186:189] offset:16
	ds_write_b128 v197, v[0:3] offset:32
	v_accvgpr_read_b32 v0, a38
	v_fma_f64 v[174:175], s[8:9], v[8:9], v[166:167]
	v_fmac_f64_e32 v[166:167], s[14:15], v[8:9]
	ds_write_b128 v0, v[4:7]
	ds_write_b128 v0, v[160:163] offset:16
	ds_write_b128 v0, v[156:159] offset:32
	ds_write_b128 v193, v[168:171]
	ds_write_b128 v193, v[172:175] offset:16
	ds_write_b128 v193, v[164:167] offset:32
	s_waitcnt lgkmcnt(0)
	s_barrier
	ds_read_b128 v[160:163], v192
	ds_read_b128 v[188:191], v192 offset:4752
	ds_read_b128 v[184:187], v192 offset:9504
	ds_read_b128 v[180:183], v192 offset:14256
	ds_read_b128 v[176:179], v192 offset:19008
	s_and_saveexec_b64 s[2:3], vcc
	s_cbranch_execz .LBB0_11
; %bb.10:
	ds_read_b128 v[156:159], v192 offset:2640
	ds_read_b128 v[168:171], v192 offset:7392
	;; [unrolled: 1-line block ×5, first 2 shown]
.LBB0_11:
	s_or_b64 exec, exec, s[2:3]
	s_waitcnt lgkmcnt(3)
	v_mul_f64 v[0:1], v[50:51], v[190:191]
	v_fmac_f64_e32 v[0:1], v[48:49], v[188:189]
	s_waitcnt lgkmcnt(2)
	v_mul_f64 v[4:5], v[46:47], v[186:187]
	v_fmac_f64_e32 v[4:5], v[44:45], v[184:185]
	s_waitcnt lgkmcnt(1)
	v_mul_f64 v[8:9], v[42:43], v[182:183]
	v_add_f64 v[32:33], v[160:161], v[0:1]
	v_fmac_f64_e32 v[8:9], v[40:41], v[180:181]
	s_waitcnt lgkmcnt(0)
	v_mul_f64 v[12:13], v[38:39], v[178:179]
	v_add_f64 v[32:33], v[32:33], v[4:5]
	v_mul_f64 v[2:3], v[50:51], v[188:189]
	v_fmac_f64_e32 v[12:13], v[36:37], v[176:177]
	v_mul_f64 v[14:15], v[38:39], v[176:177]
	v_add_f64 v[32:33], v[32:33], v[8:9]
	v_fma_f64 v[2:3], v[48:49], v[190:191], -v[2:3]
	v_mul_f64 v[6:7], v[46:47], v[184:185]
	v_mul_f64 v[10:11], v[42:43], v[180:181]
	v_fma_f64 v[14:15], v[36:37], v[178:179], -v[14:15]
	v_add_f64 v[36:37], v[32:33], v[12:13]
	v_add_f64 v[32:33], v[4:5], v[8:9]
	s_mov_b32 s8, 0x134454ff
	v_fma_f64 v[6:7], v[44:45], v[186:187], -v[6:7]
	v_fma_f64 v[10:11], v[40:41], v[182:183], -v[10:11]
	v_fma_f64 v[48:49], -0.5, v[32:33], v[160:161]
	v_add_f64 v[32:33], v[2:3], -v[14:15]
	s_mov_b32 s9, 0xbfee6f0e
	s_mov_b32 s2, 0x4755a5e
	;; [unrolled: 1-line block ×4, first 2 shown]
	v_fma_f64 v[40:41], s[8:9], v[32:33], v[48:49]
	v_add_f64 v[38:39], v[6:7], -v[10:11]
	s_mov_b32 s3, 0xbfe2cf23
	v_add_f64 v[42:43], v[0:1], -v[4:5]
	v_add_f64 v[44:45], v[12:13], -v[8:9]
	s_mov_b32 s10, 0x372fe950
	v_fmac_f64_e32 v[48:49], s[14:15], v[32:33]
	s_mov_b32 s17, 0x3fe2cf23
	s_mov_b32 s16, s2
	v_fmac_f64_e32 v[40:41], s[2:3], v[38:39]
	v_add_f64 v[42:43], v[42:43], v[44:45]
	s_mov_b32 s11, 0x3fd3c6ef
	v_fmac_f64_e32 v[48:49], s[16:17], v[38:39]
	v_fmac_f64_e32 v[40:41], s[10:11], v[42:43]
	;; [unrolled: 1-line block ×3, first 2 shown]
	v_add_f64 v[42:43], v[0:1], v[12:13]
	v_fmac_f64_e32 v[160:161], -0.5, v[42:43]
	v_fma_f64 v[44:45], s[14:15], v[38:39], v[160:161]
	v_fmac_f64_e32 v[160:161], s[8:9], v[38:39]
	v_fmac_f64_e32 v[44:45], s[2:3], v[32:33]
	;; [unrolled: 1-line block ×3, first 2 shown]
	v_add_f64 v[32:33], v[162:163], v[2:3]
	v_add_f64 v[32:33], v[32:33], v[6:7]
	;; [unrolled: 1-line block ×3, first 2 shown]
	v_add_f64 v[42:43], v[4:5], -v[0:1]
	v_add_f64 v[46:47], v[8:9], -v[12:13]
	v_add_f64 v[38:39], v[32:33], v[14:15]
	v_add_f64 v[32:33], v[6:7], v[10:11]
	;; [unrolled: 1-line block ×3, first 2 shown]
	v_fma_f64 v[50:51], -0.5, v[32:33], v[162:163]
	v_add_f64 v[0:1], v[0:1], -v[12:13]
	v_fmac_f64_e32 v[44:45], s[10:11], v[42:43]
	v_fmac_f64_e32 v[160:161], s[10:11], v[42:43]
	v_fma_f64 v[42:43], s[14:15], v[0:1], v[50:51]
	v_add_f64 v[4:5], v[4:5], -v[8:9]
	v_add_f64 v[8:9], v[2:3], -v[6:7]
	v_add_f64 v[12:13], v[14:15], -v[10:11]
	v_fmac_f64_e32 v[50:51], s[8:9], v[0:1]
	v_fmac_f64_e32 v[42:43], s[16:17], v[4:5]
	v_add_f64 v[8:9], v[8:9], v[12:13]
	v_fmac_f64_e32 v[50:51], s[2:3], v[4:5]
	v_fmac_f64_e32 v[42:43], s[10:11], v[8:9]
	;; [unrolled: 1-line block ×3, first 2 shown]
	v_add_f64 v[8:9], v[2:3], v[14:15]
	v_mul_f64 v[16:17], v[66:67], v[170:171]
	v_fmac_f64_e32 v[162:163], -0.5, v[8:9]
	v_fmac_f64_e32 v[16:17], v[64:65], v[168:169]
	v_mul_f64 v[20:21], v[62:63], v[174:175]
	v_fma_f64 v[46:47], s[8:9], v[4:5], v[162:163]
	v_fmac_f64_e32 v[162:163], s[14:15], v[4:5]
	v_fmac_f64_e32 v[20:21], v[60:61], v[172:173]
	v_mul_f64 v[24:25], v[58:59], v[166:167]
	v_fmac_f64_e32 v[46:47], s[16:17], v[0:1]
	v_fmac_f64_e32 v[162:163], s[2:3], v[0:1]
	v_add_f64 v[0:1], v[156:157], v[16:17]
	v_fmac_f64_e32 v[24:25], v[56:57], v[164:165]
	v_mul_f64 v[28:29], v[54:55], v[154:155]
	v_add_f64 v[0:1], v[0:1], v[20:21]
	v_mul_f64 v[18:19], v[66:67], v[168:169]
	v_mul_f64 v[26:27], v[58:59], v[164:165]
	v_fmac_f64_e32 v[28:29], v[52:53], v[152:153]
	v_mul_f64 v[30:31], v[54:55], v[152:153]
	v_add_f64 v[0:1], v[0:1], v[24:25]
	v_fma_f64 v[18:19], v[64:65], v[170:171], -v[18:19]
	v_mul_f64 v[22:23], v[62:63], v[172:173]
	v_fma_f64 v[26:27], v[56:57], v[166:167], -v[26:27]
	v_fma_f64 v[30:31], v[52:53], v[154:155], -v[30:31]
	v_add_f64 v[2:3], v[6:7], -v[2:3]
	v_add_f64 v[6:7], v[10:11], -v[14:15]
	v_add_f64 v[56:57], v[0:1], v[28:29]
	v_add_f64 v[0:1], v[20:21], v[24:25]
	v_fma_f64 v[22:23], v[60:61], v[174:175], -v[22:23]
	v_add_f64 v[2:3], v[2:3], v[6:7]
	v_fma_f64 v[52:53], -0.5, v[0:1], v[156:157]
	v_add_f64 v[0:1], v[18:19], -v[30:31]
	v_fmac_f64_e32 v[46:47], s[10:11], v[2:3]
	v_fmac_f64_e32 v[162:163], s[10:11], v[2:3]
	v_fma_f64 v[60:61], s[8:9], v[0:1], v[52:53]
	v_add_f64 v[2:3], v[22:23], -v[26:27]
	v_add_f64 v[4:5], v[16:17], -v[20:21]
	;; [unrolled: 1-line block ×3, first 2 shown]
	v_fmac_f64_e32 v[52:53], s[14:15], v[0:1]
	v_fmac_f64_e32 v[60:61], s[2:3], v[2:3]
	v_add_f64 v[4:5], v[4:5], v[6:7]
	v_fmac_f64_e32 v[52:53], s[16:17], v[2:3]
	v_fmac_f64_e32 v[60:61], s[10:11], v[4:5]
	;; [unrolled: 1-line block ×3, first 2 shown]
	v_add_f64 v[4:5], v[16:17], v[28:29]
	v_fmac_f64_e32 v[156:157], -0.5, v[4:5]
	v_fma_f64 v[64:65], s[14:15], v[2:3], v[156:157]
	v_fmac_f64_e32 v[156:157], s[8:9], v[2:3]
	v_fmac_f64_e32 v[64:65], s[2:3], v[0:1]
	;; [unrolled: 1-line block ×3, first 2 shown]
	v_add_f64 v[0:1], v[158:159], v[18:19]
	v_add_f64 v[0:1], v[0:1], v[22:23]
	v_add_f64 v[0:1], v[0:1], v[26:27]
	v_add_f64 v[4:5], v[20:21], -v[16:17]
	v_add_f64 v[6:7], v[24:25], -v[28:29]
	v_add_f64 v[58:59], v[0:1], v[30:31]
	v_add_f64 v[0:1], v[22:23], v[26:27]
	;; [unrolled: 1-line block ×3, first 2 shown]
	v_fma_f64 v[54:55], -0.5, v[0:1], v[158:159]
	v_add_f64 v[0:1], v[16:17], -v[28:29]
	v_fmac_f64_e32 v[64:65], s[10:11], v[4:5]
	v_fmac_f64_e32 v[156:157], s[10:11], v[4:5]
	v_fma_f64 v[62:63], s[14:15], v[0:1], v[54:55]
	v_add_f64 v[2:3], v[20:21], -v[24:25]
	v_add_f64 v[4:5], v[18:19], -v[22:23]
	;; [unrolled: 1-line block ×3, first 2 shown]
	v_fmac_f64_e32 v[54:55], s[8:9], v[0:1]
	v_fmac_f64_e32 v[62:63], s[16:17], v[2:3]
	v_add_f64 v[4:5], v[4:5], v[6:7]
	v_fmac_f64_e32 v[54:55], s[2:3], v[2:3]
	v_fmac_f64_e32 v[62:63], s[10:11], v[4:5]
	;; [unrolled: 1-line block ×3, first 2 shown]
	v_add_f64 v[4:5], v[18:19], v[30:31]
	v_fmac_f64_e32 v[158:159], -0.5, v[4:5]
	v_fma_f64 v[66:67], s[8:9], v[2:3], v[158:159]
	v_add_f64 v[4:5], v[22:23], -v[18:19]
	v_add_f64 v[6:7], v[26:27], -v[30:31]
	v_fmac_f64_e32 v[158:159], s[14:15], v[2:3]
	v_fmac_f64_e32 v[66:67], s[16:17], v[0:1]
	v_add_f64 v[4:5], v[4:5], v[6:7]
	v_fmac_f64_e32 v[158:159], s[2:3], v[0:1]
	v_fmac_f64_e32 v[66:67], s[10:11], v[4:5]
	v_fmac_f64_e32 v[158:159], s[10:11], v[4:5]
	s_barrier
	ds_write_b128 v35, v[36:39]
	ds_write_b128 v35, v[40:43] offset:48
	ds_write_b128 v35, v[44:47] offset:96
	ds_write_b128 v35, v[160:163] offset:144
	ds_write_b128 v35, v[48:51] offset:192
	s_and_saveexec_b64 s[2:3], vcc
	s_cbranch_execz .LBB0_13
; %bb.12:
	v_accvgpr_read_b32 v0, a39
	v_lshlrev_b32_e32 v0, 4, v0
	ds_write_b128 v0, v[56:59]
	ds_write_b128 v0, v[60:63] offset:48
	ds_write_b128 v0, v[64:67] offset:96
	;; [unrolled: 1-line block ×4, first 2 shown]
.LBB0_13:
	s_or_b64 exec, exec, s[2:3]
	s_waitcnt lgkmcnt(0)
	s_barrier
	s_and_saveexec_b64 s[2:3], s[0:1]
	s_cbranch_execz .LBB0_15
; %bb.14:
	ds_read_b128 v[36:39], v192
	ds_read_b128 v[40:43], v192 offset:2160
	ds_read_b128 v[44:47], v192 offset:4320
	;; [unrolled: 1-line block ×10, first 2 shown]
.LBB0_15:
	s_or_b64 exec, exec, s[2:3]
	s_waitcnt lgkmcnt(0)
	s_barrier
	s_and_saveexec_b64 s[2:3], s[0:1]
	s_cbranch_execz .LBB0_17
; %bb.16:
	v_mul_f64 v[152:153], v[106:107], v[58:59]
	v_fmac_f64_e32 v[152:153], v[104:105], v[56:57]
	v_mul_f64 v[2:3], v[106:107], v[56:57]
	v_mul_f64 v[56:57], v[82:83], v[50:51]
	v_mul_f64 v[6:7], v[82:83], v[48:49]
	v_mul_f64 v[154:155], v[102:103], v[62:63]
	v_fma_f64 v[104:105], v[104:105], v[58:59], -v[2:3]
	v_mul_f64 v[2:3], v[102:103], v[60:61]
	v_fmac_f64_e32 v[56:57], v[80:81], v[48:49]
	v_mul_f64 v[58:59], v[98:99], v[66:67]
	v_fma_f64 v[80:81], v[80:81], v[50:51], -v[6:7]
	v_mul_f64 v[6:7], v[98:99], v[64:65]
	v_mul_f64 v[10:11], v[78:79], v[160:161]
	v_fmac_f64_e32 v[154:155], v[100:101], v[60:61]
	v_fma_f64 v[60:61], v[100:101], v[62:63], -v[2:3]
	v_fmac_f64_e32 v[58:59], v[96:97], v[64:65]
	v_fma_f64 v[64:65], v[96:97], v[66:67], -v[6:7]
	v_mul_f64 v[62:63], v[90:91], v[158:159]
	v_fma_f64 v[96:97], v[76:77], v[162:163], -v[10:11]
	v_mul_f64 v[10:11], v[90:91], v[156:157]
	v_mul_f64 v[82:83], v[74:75], v[46:47]
	;; [unrolled: 1-line block ×4, first 2 shown]
	v_fmac_f64_e32 v[62:63], v[88:89], v[156:157]
	v_fma_f64 v[78:79], v[88:89], v[158:159], -v[10:11]
	v_fmac_f64_e32 v[82:83], v[72:73], v[44:45]
	v_fma_f64 v[90:91], v[72:73], v[46:47], -v[14:15]
	v_mul_f64 v[88:89], v[70:71], v[42:43]
	v_mul_f64 v[72:73], v[86:87], v[142:143]
	;; [unrolled: 1-line block ×3, first 2 shown]
	v_fmac_f64_e32 v[66:67], v[76:77], v[160:161]
	v_mul_f64 v[76:77], v[94:95], v[54:55]
	v_fmac_f64_e32 v[88:89], v[68:69], v[40:41]
	v_fmac_f64_e32 v[72:73], v[84:85], v[140:141]
	s_mov_b32 s24, 0xfd768dbf
	v_fma_f64 v[70:71], v[68:69], v[42:43], -v[18:19]
	v_mul_f64 v[18:19], v[86:87], v[140:141]
	v_fmac_f64_e32 v[76:77], v[92:93], v[52:53]
	s_mov_b32 s26, 0xf8bb580b
	v_mul_f64 v[14:15], v[94:95], v[52:53]
	v_add_f64 v[160:161], v[88:89], -v[72:73]
	s_mov_b32 s25, 0xbfd207e7
	v_fma_f64 v[68:69], v[84:85], v[142:143], -v[18:19]
	s_mov_b32 s22, 0x9bcd5057
	s_mov_b32 s20, 0xbb3a28a1
	v_add_f64 v[156:157], v[82:83], -v[76:77]
	s_mov_b32 s27, 0x3fe14ced
	v_fma_f64 v[74:75], v[92:93], v[54:55], -v[14:15]
	s_mov_b32 s18, 0x8764f0ba
	v_mul_f64 v[16:17], v[160:161], s[24:25]
	v_add_f64 v[84:85], v[70:71], v[68:69]
	s_mov_b32 s23, 0xbfeeb42a
	v_add_f64 v[166:167], v[66:67], -v[62:63]
	s_mov_b32 s21, 0xbfe82f19
	s_mov_b32 s16, 0x7f775887
	v_mul_f64 v[12:13], v[156:157], s[26:27]
	v_add_f64 v[92:93], v[90:91], v[74:75]
	s_mov_b32 s19, 0x3feaeb8c
	v_fma_f64 v[18:19], s[22:23], v[84:85], v[16:17]
	v_add_f64 v[174:175], v[70:71], -v[68:69]
	s_mov_b32 s8, 0x43842ef
	v_add_f64 v[102:103], v[56:57], -v[58:59]
	s_mov_b32 s15, 0x3fed1bb4
	s_mov_b32 s14, 0x8eee2c13
	;; [unrolled: 1-line block ×3, first 2 shown]
	v_mul_f64 v[8:9], v[166:167], s[20:21]
	v_add_f64 v[106:107], v[96:97], v[78:79]
	s_mov_b32 s17, 0xbfe4f49e
	v_fma_f64 v[14:15], s[18:19], v[92:93], v[12:13]
	v_add_f64 v[18:19], v[38:39], v[18:19]
	v_add_f64 v[172:173], v[90:91], -v[74:75]
	v_add_f64 v[158:159], v[88:89], v[72:73]
	v_mul_f64 v[26:27], v[174:175], s[24:25]
	v_add_f64 v[164:165], v[152:153], -v[154:155]
	s_mov_b32 s9, 0xbfefac9e
	s_mov_b32 s0, 0x640f44db
	v_mul_f64 v[4:5], v[102:103], s[14:15]
	v_add_f64 v[98:99], v[80:81], v[64:65]
	s_mov_b32 s11, 0x3fda9628
	v_fma_f64 v[10:11], s[16:17], v[106:107], v[8:9]
	v_add_f64 v[14:15], v[14:15], v[18:19]
	v_add_f64 v[170:171], v[96:97], -v[78:79]
	v_add_f64 v[142:143], v[82:83], v[76:77]
	v_mul_f64 v[22:23], v[172:173], s[26:27]
	v_fma_f64 v[28:29], v[158:159], s[22:23], -v[26:27]
	v_mul_f64 v[0:1], v[164:165], s[8:9]
	v_add_f64 v[100:101], v[104:105], v[60:61]
	s_mov_b32 s1, 0xbfc2375f
	v_fma_f64 v[6:7], s[10:11], v[98:99], v[4:5]
	v_add_f64 v[10:11], v[10:11], v[14:15]
	v_add_f64 v[168:169], v[80:81], -v[64:65]
	v_add_f64 v[140:141], v[66:67], v[62:63]
	v_mul_f64 v[18:19], v[170:171], s[20:21]
	v_fma_f64 v[24:25], v[142:143], s[18:19], -v[22:23]
	v_add_f64 v[28:29], v[36:37], v[28:29]
	v_fma_f64 v[2:3], s[0:1], v[100:101], v[0:1]
	v_add_f64 v[6:7], v[6:7], v[10:11]
	v_add_f64 v[162:163], v[104:105], -v[60:61]
	v_add_f64 v[94:95], v[56:57], v[58:59]
	v_mul_f64 v[10:11], v[168:169], s[14:15]
	v_fma_f64 v[20:21], v[140:141], s[16:17], -v[18:19]
	v_add_f64 v[24:25], v[24:25], v[28:29]
	v_add_f64 v[42:43], v[2:3], v[6:7]
	;; [unrolled: 1-line block ×3, first 2 shown]
	v_mul_f64 v[2:3], v[162:163], s[8:9]
	v_fma_f64 v[14:15], v[94:95], s[10:11], -v[10:11]
	v_add_f64 v[20:21], v[20:21], v[24:25]
	v_fma_f64 v[6:7], v[86:87], s[0:1], -v[2:3]
	v_add_f64 v[14:15], v[14:15], v[20:21]
	v_add_f64 v[40:41], v[6:7], v[14:15]
	v_fma_f64 v[6:7], v[106:107], s[16:17], -v[8:9]
	v_fma_f64 v[8:9], v[92:93], s[18:19], -v[12:13]
	;; [unrolled: 1-line block ×3, first 2 shown]
	v_add_f64 v[12:13], v[38:39], v[12:13]
	v_add_f64 v[8:9], v[8:9], v[12:13]
	v_fma_f64 v[4:5], v[98:99], s[10:11], -v[4:5]
	v_add_f64 v[6:7], v[6:7], v[8:9]
	v_fma_f64 v[0:1], v[100:101], s[0:1], -v[0:1]
	v_add_f64 v[4:5], v[4:5], v[6:7]
	v_fmac_f64_e32 v[26:27], s[22:23], v[158:159]
	v_add_f64 v[46:47], v[0:1], v[4:5]
	v_fmac_f64_e32 v[22:23], s[18:19], v[142:143]
	;; [unrolled: 2-line block ×3, first 2 shown]
	v_add_f64 v[0:1], v[22:23], v[0:1]
	s_mov_b32 s31, 0x3fefac9e
	s_mov_b32 s30, s8
	v_mul_f64 v[16:17], v[160:161], s[20:21]
	v_add_f64 v[0:1], v[18:19], v[0:1]
	s_mov_b32 s29, 0xbfe14ced
	s_mov_b32 s28, s26
	v_mul_f64 v[12:13], v[156:157], s[30:31]
	v_fma_f64 v[18:19], s[16:17], v[84:85], v[16:17]
	v_fmac_f64_e32 v[10:11], s[10:11], v[94:95]
	v_mul_f64 v[8:9], v[166:167], s[28:29]
	v_fma_f64 v[14:15], s[0:1], v[92:93], v[12:13]
	v_add_f64 v[18:19], v[38:39], v[18:19]
	v_mul_f64 v[26:27], v[174:175], s[20:21]
	v_fmac_f64_e32 v[2:3], s[0:1], v[86:87]
	v_add_f64 v[0:1], v[10:11], v[0:1]
	v_mul_f64 v[4:5], v[102:103], s[24:25]
	v_fma_f64 v[10:11], s[18:19], v[106:107], v[8:9]
	v_add_f64 v[14:15], v[14:15], v[18:19]
	v_mul_f64 v[22:23], v[172:173], s[30:31]
	v_fma_f64 v[28:29], v[158:159], s[16:17], -v[26:27]
	v_add_f64 v[44:45], v[2:3], v[0:1]
	v_mul_f64 v[0:1], v[164:165], s[14:15]
	v_fma_f64 v[6:7], s[22:23], v[98:99], v[4:5]
	v_add_f64 v[10:11], v[10:11], v[14:15]
	v_mul_f64 v[18:19], v[170:171], s[28:29]
	v_fma_f64 v[24:25], v[142:143], s[0:1], -v[22:23]
	v_add_f64 v[28:29], v[36:37], v[28:29]
	v_fma_f64 v[2:3], s[10:11], v[100:101], v[0:1]
	v_add_f64 v[6:7], v[6:7], v[10:11]
	v_mul_f64 v[10:11], v[168:169], s[24:25]
	v_fma_f64 v[20:21], v[140:141], s[18:19], -v[18:19]
	v_add_f64 v[24:25], v[24:25], v[28:29]
	v_add_f64 v[50:51], v[2:3], v[6:7]
	v_mul_f64 v[2:3], v[162:163], s[14:15]
	v_fma_f64 v[14:15], v[94:95], s[22:23], -v[10:11]
	v_add_f64 v[20:21], v[20:21], v[24:25]
	v_fma_f64 v[6:7], v[86:87], s[10:11], -v[2:3]
	v_add_f64 v[14:15], v[14:15], v[20:21]
	v_add_f64 v[48:49], v[6:7], v[14:15]
	v_fma_f64 v[6:7], v[106:107], s[18:19], -v[8:9]
	v_fma_f64 v[8:9], v[92:93], s[0:1], -v[12:13]
	v_fma_f64 v[12:13], v[84:85], s[16:17], -v[16:17]
	v_add_f64 v[12:13], v[38:39], v[12:13]
	v_add_f64 v[8:9], v[8:9], v[12:13]
	v_fma_f64 v[4:5], v[98:99], s[22:23], -v[4:5]
	v_add_f64 v[6:7], v[6:7], v[8:9]
	v_fma_f64 v[0:1], v[100:101], s[10:11], -v[0:1]
	v_add_f64 v[4:5], v[4:5], v[6:7]
	v_fmac_f64_e32 v[26:27], s[16:17], v[158:159]
	v_add_f64 v[54:55], v[0:1], v[4:5]
	v_fmac_f64_e32 v[22:23], s[0:1], v[142:143]
	;; [unrolled: 2-line block ×3, first 2 shown]
	v_add_f64 v[0:1], v[22:23], v[0:1]
	s_mov_b32 s35, 0x3fd207e7
	s_mov_b32 s34, s24
	v_mul_f64 v[16:17], v[160:161], s[8:9]
	v_add_f64 v[0:1], v[18:19], v[0:1]
	v_mul_f64 v[12:13], v[156:157], s[34:35]
	v_fma_f64 v[18:19], s[0:1], v[84:85], v[16:17]
	v_fma_f64 v[16:17], v[84:85], s[0:1], -v[16:17]
	v_fmac_f64_e32 v[10:11], s[22:23], v[94:95]
	v_mul_f64 v[8:9], v[166:167], s[14:15]
	v_fma_f64 v[14:15], s[22:23], v[92:93], v[12:13]
	v_fma_f64 v[12:13], v[92:93], s[22:23], -v[12:13]
	v_add_f64 v[16:17], v[38:39], v[16:17]
	v_fmac_f64_e32 v[2:3], s[10:11], v[86:87]
	v_add_f64 v[0:1], v[10:11], v[0:1]
	v_mul_f64 v[6:7], v[102:103], s[28:29]
	v_fma_f64 v[10:11], s[10:11], v[106:107], v[8:9]
	v_fma_f64 v[8:9], v[106:107], s[10:11], -v[8:9]
	v_add_f64 v[12:13], v[12:13], v[16:17]
	v_add_f64 v[52:53], v[2:3], v[0:1]
	v_mul_f64 v[4:5], v[164:165], s[20:21]
	v_fma_f64 v[2:3], s[18:19], v[98:99], v[6:7]
	v_mul_f64 v[28:29], v[174:175], s[8:9]
	v_fma_f64 v[6:7], v[98:99], s[18:19], -v[6:7]
	v_add_f64 v[8:9], v[8:9], v[12:13]
	v_fma_f64 v[0:1], s[16:17], v[100:101], v[4:5]
	v_add_f64 v[18:19], v[38:39], v[18:19]
	v_mul_f64 v[24:25], v[172:173], s[34:35]
	v_fma_f64 v[30:31], v[158:159], s[0:1], -v[28:29]
	v_fma_f64 v[4:5], v[100:101], s[16:17], -v[4:5]
	v_add_f64 v[6:7], v[6:7], v[8:9]
	v_fmac_f64_e32 v[28:29], s[0:1], v[158:159]
	v_add_f64 v[14:15], v[14:15], v[18:19]
	v_mul_f64 v[20:21], v[170:171], s[14:15]
	v_fma_f64 v[26:27], v[142:143], s[22:23], -v[24:25]
	v_add_f64 v[30:31], v[36:37], v[30:31]
	v_add_f64 v[6:7], v[4:5], v[6:7]
	v_fmac_f64_e32 v[24:25], s[22:23], v[142:143]
	v_add_f64 v[4:5], v[36:37], v[28:29]
	s_mov_b32 s15, 0xbfed1bb4
	v_add_f64 v[10:11], v[10:11], v[14:15]
	v_mul_f64 v[14:15], v[168:169], s[28:29]
	v_fma_f64 v[22:23], v[140:141], s[10:11], -v[20:21]
	v_add_f64 v[26:27], v[26:27], v[30:31]
	v_fmac_f64_e32 v[20:21], s[10:11], v[140:141]
	v_add_f64 v[4:5], v[24:25], v[4:5]
	v_mul_f64 v[24:25], v[160:161], s[14:15]
	v_add_f64 v[2:3], v[2:3], v[10:11]
	v_mul_f64 v[10:11], v[162:163], s[20:21]
	v_fma_f64 v[18:19], v[94:95], s[18:19], -v[14:15]
	v_add_f64 v[22:23], v[22:23], v[26:27]
	v_add_f64 v[4:5], v[20:21], v[4:5]
	v_mul_f64 v[20:21], v[156:157], s[20:21]
	v_fma_f64 v[26:27], s[10:11], v[84:85], v[24:25]
	v_fma_f64 v[24:25], v[84:85], s[10:11], -v[24:25]
	v_add_f64 v[2:3], v[0:1], v[2:3]
	v_fma_f64 v[0:1], v[86:87], s[16:17], -v[10:11]
	v_add_f64 v[18:19], v[18:19], v[22:23]
	v_fmac_f64_e32 v[14:15], s[18:19], v[94:95]
	v_mul_f64 v[16:17], v[166:167], s[34:35]
	v_fma_f64 v[22:23], s[16:17], v[92:93], v[20:21]
	v_fma_f64 v[20:21], v[92:93], s[16:17], -v[20:21]
	v_add_f64 v[24:25], v[38:39], v[24:25]
	v_add_f64 v[0:1], v[0:1], v[18:19]
	v_fmac_f64_e32 v[10:11], s[16:17], v[86:87]
	v_add_f64 v[4:5], v[14:15], v[4:5]
	v_mul_f64 v[14:15], v[102:103], s[30:31]
	v_fma_f64 v[18:19], s[22:23], v[106:107], v[16:17]
	v_mul_f64 v[180:181], v[174:175], s[14:15]
	v_fma_f64 v[16:17], v[106:107], s[22:23], -v[16:17]
	v_add_f64 v[20:21], v[20:21], v[24:25]
	v_add_f64 v[4:5], v[10:11], v[4:5]
	v_mul_f64 v[12:13], v[164:165], s[26:27]
	v_fma_f64 v[10:11], s[0:1], v[98:99], v[14:15]
	v_mul_f64 v[32:33], v[172:173], s[20:21]
	v_fma_f64 v[178:179], v[158:159], s[10:11], -v[180:181]
	v_fma_f64 v[14:15], v[98:99], s[0:1], -v[14:15]
	v_add_f64 v[16:17], v[16:17], v[20:21]
	v_fma_f64 v[8:9], s[18:19], v[100:101], v[12:13]
	v_add_f64 v[26:27], v[38:39], v[26:27]
	v_fma_f64 v[176:177], v[142:143], s[16:17], -v[32:33]
	v_add_f64 v[178:179], v[36:37], v[178:179]
	v_fma_f64 v[12:13], v[100:101], s[18:19], -v[12:13]
	v_add_f64 v[14:15], v[14:15], v[16:17]
	v_fmac_f64_e32 v[180:181], s[10:11], v[158:159]
	v_add_f64 v[22:23], v[22:23], v[26:27]
	v_mul_f64 v[28:29], v[170:171], s[34:35]
	v_add_f64 v[176:177], v[176:177], v[178:179]
	v_add_f64 v[178:179], v[12:13], v[14:15]
	v_fmac_f64_e32 v[32:33], s[16:17], v[142:143]
	v_add_f64 v[12:13], v[36:37], v[180:181]
	v_add_f64 v[18:19], v[18:19], v[22:23]
	v_mul_f64 v[22:23], v[168:169], s[30:31]
	v_fma_f64 v[30:31], v[140:141], s[22:23], -v[28:29]
	v_fmac_f64_e32 v[28:29], s[22:23], v[140:141]
	v_add_f64 v[12:13], v[32:33], v[12:13]
	v_add_f64 v[10:11], v[10:11], v[18:19]
	v_mul_f64 v[18:19], v[162:163], s[26:27]
	v_fma_f64 v[26:27], v[94:95], s[0:1], -v[22:23]
	v_add_f64 v[30:31], v[30:31], v[176:177]
	v_add_f64 v[12:13], v[28:29], v[12:13]
	v_mul_f64 v[28:29], v[160:161], s[28:29]
	v_add_f64 v[10:11], v[8:9], v[10:11]
	v_fma_f64 v[8:9], v[86:87], s[18:19], -v[18:19]
	v_add_f64 v[26:27], v[26:27], v[30:31]
	v_mul_f64 v[24:25], v[156:157], s[14:15]
	v_fma_f64 v[30:31], s[18:19], v[84:85], v[28:29]
	v_add_f64 v[8:9], v[8:9], v[26:27]
	v_fmac_f64_e32 v[22:23], s[0:1], v[94:95]
	v_mul_f64 v[20:21], v[166:167], s[8:9]
	v_fma_f64 v[26:27], s[10:11], v[92:93], v[24:25]
	v_add_f64 v[30:31], v[38:39], v[30:31]
	v_fmac_f64_e32 v[18:19], s[18:19], v[86:87]
	v_add_f64 v[12:13], v[22:23], v[12:13]
	v_mul_f64 v[16:17], v[102:103], s[20:21]
	v_fma_f64 v[22:23], s[0:1], v[106:107], v[20:21]
	v_add_f64 v[26:27], v[26:27], v[30:31]
	v_add_f64 v[176:177], v[18:19], v[12:13]
	v_mul_f64 v[12:13], v[164:165], s[24:25]
	v_fma_f64 v[18:19], s[16:17], v[98:99], v[16:17]
	v_add_f64 v[22:23], v[22:23], v[26:27]
	v_fma_f64 v[14:15], s[22:23], v[100:101], v[12:13]
	v_add_f64 v[18:19], v[18:19], v[22:23]
	v_mul_f64 v[160:161], v[174:175], s[28:29]
	v_add_f64 v[164:165], v[14:15], v[18:19]
	v_mul_f64 v[14:15], v[162:163], s[24:25]
	v_mul_f64 v[102:103], v[172:173], s[14:15]
	v_fma_f64 v[162:163], v[158:159], s[18:19], -v[160:161]
	v_mul_f64 v[30:31], v[170:171], s[8:9]
	v_fma_f64 v[156:157], v[142:143], s[10:11], -v[102:103]
	v_add_f64 v[162:163], v[36:37], v[162:163]
	v_mul_f64 v[22:23], v[168:169], s[20:21]
	v_fma_f64 v[32:33], v[140:141], s[0:1], -v[30:31]
	v_add_f64 v[156:157], v[156:157], v[162:163]
	v_fma_f64 v[26:27], v[94:95], s[16:17], -v[22:23]
	v_add_f64 v[32:33], v[32:33], v[156:157]
	;; [unrolled: 2-line block ×3, first 2 shown]
	v_add_f64 v[162:163], v[18:19], v[26:27]
	v_fma_f64 v[18:19], v[106:107], s[0:1], -v[20:21]
	v_fma_f64 v[20:21], v[92:93], s[10:11], -v[24:25]
	;; [unrolled: 1-line block ×3, first 2 shown]
	v_add_f64 v[24:25], v[38:39], v[24:25]
	v_add_f64 v[20:21], v[20:21], v[24:25]
	v_fma_f64 v[16:17], v[98:99], s[16:17], -v[16:17]
	v_add_f64 v[18:19], v[18:19], v[20:21]
	v_fma_f64 v[12:13], v[100:101], s[22:23], -v[12:13]
	v_add_f64 v[16:17], v[16:17], v[18:19]
	v_fmac_f64_e32 v[160:161], s[18:19], v[158:159]
	v_add_f64 v[100:101], v[12:13], v[16:17]
	v_fmac_f64_e32 v[102:103], s[10:11], v[142:143]
	;; [unrolled: 2-line block ×5, first 2 shown]
	v_add_f64 v[12:13], v[22:23], v[12:13]
	v_add_f64 v[98:99], v[14:15], v[12:13]
	;; [unrolled: 1-line block ×22, first 2 shown]
	v_mul_u32_u24_e32 v12, 0xa5, v195
	v_add_lshl_u32 v12, v12, v196, 4
	ds_write_b128 v12, v[36:39]
	ds_write_b128 v12, v[98:101] offset:240
	ds_write_b128 v12, v[176:179] offset:480
	;; [unrolled: 1-line block ×10, first 2 shown]
.LBB0_17:
	s_or_b64 exec, exec, s[2:3]
	s_waitcnt lgkmcnt(0)
	s_barrier
	ds_read_b128 v[0:3], v192
	ds_read_b128 v[4:7], v192 offset:2640
	ds_read_b128 v[8:11], v192 offset:15840
	ds_read_b128 v[42:45], v192 offset:18480
	ds_read_b128 v[46:49], v192 offset:7920
	ds_read_b128 v[50:53], v192 offset:5280
	ds_read_b128 v[54:57], v192 offset:10560
	ds_read_b128 v[58:61], v192 offset:13200
	ds_read_b128 v[62:65], v192 offset:21120
	s_waitcnt lgkmcnt(6)
	v_mul_f64 v[16:17], v[110:111], v[10:11]
	v_fmac_f64_e32 v[16:17], v[108:109], v[8:9]
	v_mul_f64 v[8:9], v[110:111], v[8:9]
	v_fma_f64 v[18:19], v[108:109], v[10:11], -v[8:9]
	s_waitcnt lgkmcnt(2)
	v_mul_f64 v[8:9], v[114:115], v[54:55]
	v_mul_f64 v[12:13], v[114:115], v[48:49]
	v_fma_f64 v[22:23], v[112:113], v[56:57], -v[8:9]
	v_mul_f64 v[8:9], v[110:111], v[42:43]
	v_mad_u64_u32 v[38:39], s[0:1], s6, v34, 0
	v_fmac_f64_e32 v[12:13], v[112:113], v[46:47]
	v_mul_f64 v[14:15], v[114:115], v[46:47]
	v_fma_f64 v[26:27], v[108:109], v[44:45], -v[8:9]
	s_waitcnt lgkmcnt(1)
	v_mul_f64 v[8:9], v[122:123], v[58:59]
	v_fma_f64 v[14:15], v[112:113], v[48:49], -v[14:15]
	v_fma_f64 v[30:31], v[120:121], v[60:61], -v[8:9]
	s_waitcnt lgkmcnt(0)
	v_mul_f64 v[8:9], v[118:119], v[62:63]
	v_add_f64 v[10:11], v[12:13], v[16:17]
	s_mov_b32 s0, 0xe8584caa
	v_mul_f64 v[24:25], v[110:111], v[44:45]
	v_mul_f64 v[32:33], v[118:119], v[64:65]
	v_fma_f64 v[64:65], v[116:117], v[64:65], -v[8:9]
	v_add_f64 v[8:9], v[0:1], v[12:13]
	v_fmac_f64_e32 v[0:1], -0.5, v[10:11]
	v_add_f64 v[10:11], v[14:15], -v[18:19]
	s_mov_b32 s1, 0xbfebb67a
	s_mov_b32 s3, 0x3febb67a
	;; [unrolled: 1-line block ×3, first 2 shown]
	v_mul_f64 v[20:21], v[114:115], v[56:57]
	v_fmac_f64_e32 v[24:25], v[108:109], v[42:43]
	v_fma_f64 v[42:43], s[0:1], v[10:11], v[0:1]
	v_fmac_f64_e32 v[0:1], s[2:3], v[10:11]
	v_add_f64 v[10:11], v[2:3], v[14:15]
	v_add_f64 v[14:15], v[14:15], v[18:19]
	v_fmac_f64_e32 v[20:21], v[112:113], v[54:55]
	v_fmac_f64_e32 v[2:3], -0.5, v[14:15]
	v_add_f64 v[12:13], v[12:13], -v[16:17]
	v_fma_f64 v[44:45], s[2:3], v[12:13], v[2:3]
	v_fmac_f64_e32 v[2:3], s[0:1], v[12:13]
	v_add_f64 v[12:13], v[4:5], v[20:21]
	v_add_f64 v[46:47], v[12:13], v[24:25]
	;; [unrolled: 1-line block ×3, first 2 shown]
	v_fmac_f64_e32 v[4:5], -0.5, v[12:13]
	v_add_f64 v[12:13], v[22:23], -v[26:27]
	v_fma_f64 v[54:55], s[0:1], v[12:13], v[4:5]
	v_fmac_f64_e32 v[4:5], s[2:3], v[12:13]
	v_add_f64 v[12:13], v[6:7], v[22:23]
	v_mul_f64 v[28:29], v[122:123], v[60:61]
	v_add_f64 v[48:49], v[12:13], v[26:27]
	v_add_f64 v[12:13], v[22:23], v[26:27]
	v_fmac_f64_e32 v[28:29], v[120:121], v[58:59]
	v_fmac_f64_e32 v[6:7], -0.5, v[12:13]
	v_add_f64 v[12:13], v[20:21], -v[24:25]
	v_fmac_f64_e32 v[32:33], v[116:117], v[62:63]
	v_fma_f64 v[56:57], s[2:3], v[12:13], v[6:7]
	v_fmac_f64_e32 v[6:7], s[0:1], v[12:13]
	v_add_f64 v[12:13], v[50:51], v[28:29]
	v_add_f64 v[58:59], v[12:13], v[32:33]
	v_add_f64 v[12:13], v[28:29], v[32:33]
	v_fmac_f64_e32 v[50:51], -0.5, v[12:13]
	v_add_f64 v[12:13], v[30:31], -v[64:65]
	v_fma_f64 v[62:63], s[0:1], v[12:13], v[50:51]
	v_fmac_f64_e32 v[50:51], s[2:3], v[12:13]
	v_add_f64 v[12:13], v[52:53], v[30:31]
	v_add_f64 v[60:61], v[12:13], v[64:65]
	;; [unrolled: 1-line block ×3, first 2 shown]
	v_fmac_f64_e32 v[52:53], -0.5, v[12:13]
	v_add_f64 v[12:13], v[28:29], -v[32:33]
	v_add_f64 v[8:9], v[8:9], v[16:17]
	v_add_f64 v[10:11], v[10:11], v[18:19]
	v_fma_f64 v[64:65], s[2:3], v[12:13], v[52:53]
	v_fmac_f64_e32 v[52:53], s[0:1], v[12:13]
	s_barrier
	ds_write_b128 v192, v[8:11]
	ds_write_b128 v192, v[42:45] offset:2640
	ds_write_b128 v192, v[0:3] offset:5280
	;; [unrolled: 1-line block ×8, first 2 shown]
	s_waitcnt lgkmcnt(0)
	s_barrier
	ds_read_b128 v[0:3], v192
	ds_read_b128 v[4:7], v192 offset:2640
	ds_read_b128 v[8:11], v192 offset:15840
	;; [unrolled: 1-line block ×8, first 2 shown]
	s_waitcnt lgkmcnt(6)
	v_mul_f64 v[16:17], v[130:131], v[10:11]
	v_fmac_f64_e32 v[16:17], v[128:129], v[8:9]
	v_mul_f64 v[8:9], v[130:131], v[8:9]
	v_fma_f64 v[18:19], v[128:129], v[10:11], -v[8:9]
	s_waitcnt lgkmcnt(2)
	v_mul_f64 v[8:9], v[134:135], v[54:55]
	v_mul_f64 v[12:13], v[126:127], v[48:49]
	v_fma_f64 v[22:23], v[132:133], v[56:57], -v[8:9]
	v_mul_f64 v[8:9], v[138:139], v[42:43]
	v_fmac_f64_e32 v[12:13], v[124:125], v[46:47]
	v_mul_f64 v[14:15], v[126:127], v[46:47]
	v_fma_f64 v[26:27], v[136:137], v[44:45], -v[8:9]
	s_waitcnt lgkmcnt(1)
	v_mul_f64 v[8:9], v[146:147], v[58:59]
	v_fma_f64 v[14:15], v[124:125], v[48:49], -v[14:15]
	v_fma_f64 v[30:31], v[144:145], v[60:61], -v[8:9]
	s_waitcnt lgkmcnt(0)
	v_mul_f64 v[8:9], v[150:151], v[62:63]
	v_add_f64 v[10:11], v[12:13], v[16:17]
	v_mul_f64 v[24:25], v[138:139], v[44:45]
	v_mul_f64 v[32:33], v[150:151], v[64:65]
	v_fma_f64 v[64:65], v[148:149], v[64:65], -v[8:9]
	v_add_f64 v[8:9], v[0:1], v[12:13]
	v_fmac_f64_e32 v[0:1], -0.5, v[10:11]
	v_add_f64 v[10:11], v[14:15], -v[18:19]
	v_mul_f64 v[20:21], v[134:135], v[56:57]
	v_fmac_f64_e32 v[24:25], v[136:137], v[42:43]
	v_fma_f64 v[42:43], s[0:1], v[10:11], v[0:1]
	v_fmac_f64_e32 v[0:1], s[2:3], v[10:11]
	v_add_f64 v[10:11], v[2:3], v[14:15]
	v_add_f64 v[14:15], v[14:15], v[18:19]
	v_fmac_f64_e32 v[20:21], v[132:133], v[54:55]
	v_fmac_f64_e32 v[2:3], -0.5, v[14:15]
	v_add_f64 v[12:13], v[12:13], -v[16:17]
	v_fma_f64 v[44:45], s[2:3], v[12:13], v[2:3]
	v_fmac_f64_e32 v[2:3], s[0:1], v[12:13]
	v_add_f64 v[12:13], v[4:5], v[20:21]
	v_add_f64 v[46:47], v[12:13], v[24:25]
	;; [unrolled: 1-line block ×3, first 2 shown]
	v_fmac_f64_e32 v[4:5], -0.5, v[12:13]
	v_add_f64 v[12:13], v[22:23], -v[26:27]
	v_fma_f64 v[54:55], s[0:1], v[12:13], v[4:5]
	v_fmac_f64_e32 v[4:5], s[2:3], v[12:13]
	v_add_f64 v[12:13], v[6:7], v[22:23]
	v_mul_f64 v[28:29], v[146:147], v[60:61]
	v_add_f64 v[48:49], v[12:13], v[26:27]
	v_add_f64 v[12:13], v[22:23], v[26:27]
	v_fmac_f64_e32 v[28:29], v[144:145], v[58:59]
	v_fmac_f64_e32 v[6:7], -0.5, v[12:13]
	v_add_f64 v[12:13], v[20:21], -v[24:25]
	v_fmac_f64_e32 v[32:33], v[148:149], v[62:63]
	v_fma_f64 v[56:57], s[2:3], v[12:13], v[6:7]
	v_fmac_f64_e32 v[6:7], s[0:1], v[12:13]
	v_add_f64 v[12:13], v[50:51], v[28:29]
	v_add_f64 v[58:59], v[12:13], v[32:33]
	;; [unrolled: 1-line block ×3, first 2 shown]
	v_fmac_f64_e32 v[50:51], -0.5, v[12:13]
	v_add_f64 v[12:13], v[30:31], -v[64:65]
	v_fma_f64 v[62:63], s[0:1], v[12:13], v[50:51]
	v_fmac_f64_e32 v[50:51], s[2:3], v[12:13]
	v_add_f64 v[12:13], v[52:53], v[30:31]
	v_add_f64 v[60:61], v[12:13], v[64:65]
	;; [unrolled: 1-line block ×5, first 2 shown]
	v_fmac_f64_e32 v[52:53], -0.5, v[12:13]
	v_add_f64 v[12:13], v[28:29], -v[32:33]
	v_fma_f64 v[64:65], s[2:3], v[12:13], v[52:53]
	v_fmac_f64_e32 v[52:53], s[0:1], v[12:13]
	ds_write_b128 v192, v[8:11]
	ds_write_b128 v192, v[42:45] offset:7920
	ds_write_b128 v192, v[0:3] offset:15840
	;; [unrolled: 1-line block ×8, first 2 shown]
	s_waitcnt lgkmcnt(0)
	s_barrier
	ds_read_b128 v[0:3], v192
	v_mov_b32_e32 v40, v39
	v_accvgpr_read_b32 v10, a32
	v_mad_u64_u32 v[4:5], s[0:1], s7, v34, v[40:41]
	v_accvgpr_read_b32 v12, a34
	v_accvgpr_read_b32 v13, a35
	v_mov_b32_e32 v39, v4
	ds_read_b128 v[4:7], v192 offset:2640
	v_accvgpr_read_b32 v11, a33
	s_waitcnt lgkmcnt(1)
	v_mul_f64 v[8:9], v[12:13], v[2:3]
	v_fmac_f64_e32 v[8:9], v[10:11], v[0:1]
	s_mov_b32 s0, 0xef473283
	v_mul_f64 v[0:1], v[12:13], v[0:1]
	s_mov_b32 s1, 0x3f4610e4
	v_fma_f64 v[0:1], v[10:11], v[2:3], -v[0:1]
	v_mad_u64_u32 v[12:13], s[2:3], s4, v194, 0
	v_mul_f64 v[10:11], v[0:1], s[0:1]
	v_mov_b32_e32 v0, v13
	v_mad_u64_u32 v[0:1], s[2:3], s5, v194, v[0:1]
	v_mov_b32_e32 v13, v0
	ds_read_b128 v[0:3], v192 offset:7920
	v_mov_b32_e32 v36, s12
	v_mov_b32_e32 v37, s13
	v_lshl_add_u64 v[14:15], v[38:39], 4, v[36:37]
	v_accvgpr_read_b32 v19, a3
	v_mul_f64 v[8:9], v[8:9], s[0:1]
	v_lshl_add_u64 v[12:13], v[12:13], 4, v[14:15]
	v_accvgpr_read_b32 v18, a2
	global_store_dwordx4 v[12:13], v[8:11], off
	ds_read_b128 v[8:11], v192 offset:5280
	v_accvgpr_read_b32 v17, a1
	v_accvgpr_read_b32 v16, a0
	s_waitcnt lgkmcnt(1)
	v_mul_f64 v[14:15], v[18:19], v[2:3]
	v_fmac_f64_e32 v[14:15], v[16:17], v[0:1]
	v_mul_f64 v[0:1], v[18:19], v[0:1]
	v_fma_f64 v[0:1], v[16:17], v[2:3], -v[0:1]
	v_mul_f64 v[34:35], v[0:1], s[0:1]
	ds_read_b128 v[0:3], v192 offset:15840
	v_mov_b32_e32 v18, 0x1ef0
	v_mad_u64_u32 v[12:13], s[2:3], s4, v18, v[12:13]
	s_mul_i32 s6, s5, 0x1ef0
	v_accvgpr_read_b32 v23, a7
	v_mul_f64 v[32:33], v[14:15], s[0:1]
	v_add_u32_e32 v13, s6, v13
	v_accvgpr_read_b32 v22, a6
	global_store_dwordx4 v[12:13], v[32:35], off
	ds_read_b128 v[32:35], v192 offset:18480
	v_accvgpr_read_b32 v21, a5
	v_accvgpr_read_b32 v20, a4
	s_waitcnt lgkmcnt(1)
	v_mul_f64 v[14:15], v[22:23], v[2:3]
	v_fmac_f64_e32 v[14:15], v[20:21], v[0:1]
	v_mul_f64 v[36:37], v[14:15], s[0:1]
	v_mul_f64 v[0:1], v[22:23], v[0:1]
	v_accvgpr_read_b32 v17, a15
	v_fma_f64 v[0:1], v[20:21], v[2:3], -v[0:1]
	v_accvgpr_read_b32 v16, a14
	v_mul_f64 v[38:39], v[0:1], s[0:1]
	v_mad_u64_u32 v[12:13], s[2:3], s4, v18, v[12:13]
	v_accvgpr_read_b32 v15, a13
	v_accvgpr_read_b32 v14, a12
	v_mul_f64 v[0:1], v[16:17], v[6:7]
	v_mul_f64 v[2:3], v[16:17], v[4:5]
	v_add_u32_e32 v13, s6, v13
	v_fmac_f64_e32 v[0:1], v[14:15], v[4:5]
	v_fma_f64 v[2:3], v[14:15], v[6:7], -v[2:3]
	v_mov_b32_e32 v19, 0xffffcc70
	ds_read_b128 v[4:7], v192 offset:10560
	v_mad_u64_u32 v[16:17], s[2:3], s4, v19, v[12:13]
	s_mul_i32 s2, s5, 0xffffcc70
	s_sub_i32 s5, s2, s4
	v_accvgpr_read_b32 v23, a11
	v_mul_f64 v[0:1], v[0:1], s[0:1]
	v_mul_f64 v[2:3], v[2:3], s[0:1]
	v_add_u32_e32 v17, s5, v17
	v_accvgpr_read_b32 v22, a10
	global_store_dwordx4 v[12:13], v[36:39], off
	global_store_dwordx4 v[16:17], v[0:3], off
	ds_read_b128 v[0:3], v192 offset:13200
	v_accvgpr_read_b32 v21, a9
	v_accvgpr_read_b32 v20, a8
	s_waitcnt lgkmcnt(1)
	v_mul_f64 v[12:13], v[22:23], v[6:7]
	v_fmac_f64_e32 v[12:13], v[20:21], v[4:5]
	v_mul_f64 v[4:5], v[22:23], v[4:5]
	v_fma_f64 v[4:5], v[20:21], v[6:7], -v[4:5]
	v_mad_u64_u32 v[16:17], s[2:3], s4, v18, v[16:17]
	v_mul_f64 v[12:13], v[12:13], s[0:1]
	v_mul_f64 v[14:15], v[4:5], s[0:1]
	v_add_u32_e32 v17, s6, v17
	global_store_dwordx4 v[16:17], v[12:15], off
	s_nop 1
	v_accvgpr_read_b32 v12, a16
	v_accvgpr_read_b32 v14, a18
	;; [unrolled: 1-line block ×4, first 2 shown]
	v_mul_f64 v[4:5], v[14:15], v[34:35]
	v_mul_f64 v[6:7], v[14:15], v[32:33]
	v_fmac_f64_e32 v[4:5], v[12:13], v[32:33]
	v_fma_f64 v[6:7], v[12:13], v[34:35], -v[6:7]
	v_mad_u64_u32 v[12:13], s[2:3], s4, v18, v[16:17]
	v_accvgpr_read_b32 v14, a20
	v_mul_f64 v[4:5], v[4:5], s[0:1]
	v_mul_f64 v[6:7], v[6:7], s[0:1]
	v_add_u32_e32 v13, s6, v13
	v_accvgpr_read_b32 v16, a22
	v_accvgpr_read_b32 v17, a23
	global_store_dwordx4 v[12:13], v[4:7], off
	v_accvgpr_read_b32 v15, a21
	s_nop 0
	v_mul_f64 v[4:5], v[16:17], v[10:11]
	v_mul_f64 v[6:7], v[16:17], v[8:9]
	v_fmac_f64_e32 v[4:5], v[14:15], v[8:9]
	v_fma_f64 v[6:7], v[14:15], v[10:11], -v[6:7]
	v_mad_u64_u32 v[8:9], s[2:3], s4, v19, v[12:13]
	v_accvgpr_read_b32 v10, a24
	v_mul_f64 v[4:5], v[4:5], s[0:1]
	v_mul_f64 v[6:7], v[6:7], s[0:1]
	v_add_u32_e32 v9, s5, v9
	v_accvgpr_read_b32 v12, a26
	v_accvgpr_read_b32 v13, a27
	global_store_dwordx4 v[8:9], v[4:7], off
	v_accvgpr_read_b32 v11, a25
	v_mad_u64_u32 v[8:9], s[2:3], s4, v18, v[8:9]
	s_waitcnt lgkmcnt(0)
	v_mul_f64 v[4:5], v[12:13], v[2:3]
	v_fmac_f64_e32 v[4:5], v[10:11], v[0:1]
	v_mul_f64 v[0:1], v[12:13], v[0:1]
	v_fma_f64 v[0:1], v[10:11], v[2:3], -v[0:1]
	v_mul_f64 v[6:7], v[0:1], s[0:1]
	ds_read_b128 v[0:3], v192 offset:21120
	v_accvgpr_read_b32 v10, a28
	v_mul_f64 v[4:5], v[4:5], s[0:1]
	v_add_u32_e32 v9, s6, v9
	v_accvgpr_read_b32 v12, a30
	v_accvgpr_read_b32 v13, a31
	global_store_dwordx4 v[8:9], v[4:7], off
	v_accvgpr_read_b32 v11, a29
	s_waitcnt lgkmcnt(0)
	v_mul_f64 v[4:5], v[12:13], v[2:3]
	v_fmac_f64_e32 v[4:5], v[10:11], v[0:1]
	v_mul_f64 v[0:1], v[12:13], v[0:1]
	v_fma_f64 v[0:1], v[10:11], v[2:3], -v[0:1]
	v_mul_f64 v[4:5], v[4:5], s[0:1]
	v_mul_f64 v[6:7], v[0:1], s[0:1]
	v_mad_u64_u32 v[0:1], s[0:1], s4, v18, v[8:9]
	v_add_u32_e32 v1, s6, v1
	global_store_dwordx4 v[0:1], v[4:7], off
.LBB0_18:
	s_endpgm
	.section	.rodata,"a",@progbits
	.p2align	6, 0x0
	.amdhsa_kernel bluestein_single_back_len1485_dim1_dp_op_CI_CI
		.amdhsa_group_segment_fixed_size 23760
		.amdhsa_private_segment_fixed_size 0
		.amdhsa_kernarg_size 104
		.amdhsa_user_sgpr_count 2
		.amdhsa_user_sgpr_dispatch_ptr 0
		.amdhsa_user_sgpr_queue_ptr 0
		.amdhsa_user_sgpr_kernarg_segment_ptr 1
		.amdhsa_user_sgpr_dispatch_id 0
		.amdhsa_user_sgpr_kernarg_preload_length 0
		.amdhsa_user_sgpr_kernarg_preload_offset 0
		.amdhsa_user_sgpr_private_segment_size 0
		.amdhsa_uses_dynamic_stack 0
		.amdhsa_enable_private_segment 0
		.amdhsa_system_sgpr_workgroup_id_x 1
		.amdhsa_system_sgpr_workgroup_id_y 0
		.amdhsa_system_sgpr_workgroup_id_z 0
		.amdhsa_system_sgpr_workgroup_info 0
		.amdhsa_system_vgpr_workitem_id 0
		.amdhsa_next_free_vgpr 334
		.amdhsa_next_free_sgpr 46
		.amdhsa_accum_offset 256
		.amdhsa_reserve_vcc 1
		.amdhsa_float_round_mode_32 0
		.amdhsa_float_round_mode_16_64 0
		.amdhsa_float_denorm_mode_32 3
		.amdhsa_float_denorm_mode_16_64 3
		.amdhsa_dx10_clamp 1
		.amdhsa_ieee_mode 1
		.amdhsa_fp16_overflow 0
		.amdhsa_tg_split 0
		.amdhsa_exception_fp_ieee_invalid_op 0
		.amdhsa_exception_fp_denorm_src 0
		.amdhsa_exception_fp_ieee_div_zero 0
		.amdhsa_exception_fp_ieee_overflow 0
		.amdhsa_exception_fp_ieee_underflow 0
		.amdhsa_exception_fp_ieee_inexact 0
		.amdhsa_exception_int_div_zero 0
	.end_amdhsa_kernel
	.text
.Lfunc_end0:
	.size	bluestein_single_back_len1485_dim1_dp_op_CI_CI, .Lfunc_end0-bluestein_single_back_len1485_dim1_dp_op_CI_CI
                                        ; -- End function
	.section	.AMDGPU.csdata,"",@progbits
; Kernel info:
; codeLenInByte = 16400
; NumSgprs: 52
; NumVgprs: 256
; NumAgprs: 78
; TotalNumVgprs: 334
; ScratchSize: 0
; MemoryBound: 0
; FloatMode: 240
; IeeeMode: 1
; LDSByteSize: 23760 bytes/workgroup (compile time only)
; SGPRBlocks: 6
; VGPRBlocks: 41
; NumSGPRsForWavesPerEU: 52
; NumVGPRsForWavesPerEU: 334
; AccumOffset: 256
; Occupancy: 1
; WaveLimiterHint : 1
; COMPUTE_PGM_RSRC2:SCRATCH_EN: 0
; COMPUTE_PGM_RSRC2:USER_SGPR: 2
; COMPUTE_PGM_RSRC2:TRAP_HANDLER: 0
; COMPUTE_PGM_RSRC2:TGID_X_EN: 1
; COMPUTE_PGM_RSRC2:TGID_Y_EN: 0
; COMPUTE_PGM_RSRC2:TGID_Z_EN: 0
; COMPUTE_PGM_RSRC2:TIDIG_COMP_CNT: 0
; COMPUTE_PGM_RSRC3_GFX90A:ACCUM_OFFSET: 63
; COMPUTE_PGM_RSRC3_GFX90A:TG_SPLIT: 0
	.text
	.p2alignl 6, 3212836864
	.fill 256, 4, 3212836864
	.type	__hip_cuid_c99e176bdcd8e184,@object ; @__hip_cuid_c99e176bdcd8e184
	.section	.bss,"aw",@nobits
	.globl	__hip_cuid_c99e176bdcd8e184
__hip_cuid_c99e176bdcd8e184:
	.byte	0                               ; 0x0
	.size	__hip_cuid_c99e176bdcd8e184, 1

	.ident	"AMD clang version 19.0.0git (https://github.com/RadeonOpenCompute/llvm-project roc-6.4.0 25133 c7fe45cf4b819c5991fe208aaa96edf142730f1d)"
	.section	".note.GNU-stack","",@progbits
	.addrsig
	.addrsig_sym __hip_cuid_c99e176bdcd8e184
	.amdgpu_metadata
---
amdhsa.kernels:
  - .agpr_count:     78
    .args:
      - .actual_access:  read_only
        .address_space:  global
        .offset:         0
        .size:           8
        .value_kind:     global_buffer
      - .actual_access:  read_only
        .address_space:  global
        .offset:         8
        .size:           8
        .value_kind:     global_buffer
      - .actual_access:  read_only
        .address_space:  global
        .offset:         16
        .size:           8
        .value_kind:     global_buffer
      - .actual_access:  read_only
        .address_space:  global
        .offset:         24
        .size:           8
        .value_kind:     global_buffer
      - .actual_access:  read_only
        .address_space:  global
        .offset:         32
        .size:           8
        .value_kind:     global_buffer
      - .offset:         40
        .size:           8
        .value_kind:     by_value
      - .address_space:  global
        .offset:         48
        .size:           8
        .value_kind:     global_buffer
      - .address_space:  global
        .offset:         56
        .size:           8
        .value_kind:     global_buffer
      - .address_space:  global
        .offset:         64
        .size:           8
        .value_kind:     global_buffer
      - .address_space:  global
        .offset:         72
        .size:           8
        .value_kind:     global_buffer
      - .offset:         80
        .size:           4
        .value_kind:     by_value
      - .address_space:  global
        .offset:         88
        .size:           8
        .value_kind:     global_buffer
      - .address_space:  global
        .offset:         96
        .size:           8
        .value_kind:     global_buffer
    .group_segment_fixed_size: 23760
    .kernarg_segment_align: 8
    .kernarg_segment_size: 104
    .language:       OpenCL C
    .language_version:
      - 2
      - 0
    .max_flat_workgroup_size: 165
    .name:           bluestein_single_back_len1485_dim1_dp_op_CI_CI
    .private_segment_fixed_size: 0
    .sgpr_count:     52
    .sgpr_spill_count: 0
    .symbol:         bluestein_single_back_len1485_dim1_dp_op_CI_CI.kd
    .uniform_work_group_size: 1
    .uses_dynamic_stack: false
    .vgpr_count:     334
    .vgpr_spill_count: 0
    .wavefront_size: 64
amdhsa.target:   amdgcn-amd-amdhsa--gfx950
amdhsa.version:
  - 1
  - 2
...

	.end_amdgpu_metadata
